;; amdgpu-corpus repo=ROCm/rocFFT kind=compiled arch=gfx906 opt=O3
	.text
	.amdgcn_target "amdgcn-amd-amdhsa--gfx906"
	.amdhsa_code_object_version 6
	.protected	fft_rtc_fwd_len2160_factors_10_6_6_6_wgs_60_tpt_60_halfLds_dp_ip_CI_unitstride_sbrr_dirReg ; -- Begin function fft_rtc_fwd_len2160_factors_10_6_6_6_wgs_60_tpt_60_halfLds_dp_ip_CI_unitstride_sbrr_dirReg
	.globl	fft_rtc_fwd_len2160_factors_10_6_6_6_wgs_60_tpt_60_halfLds_dp_ip_CI_unitstride_sbrr_dirReg
	.p2align	8
	.type	fft_rtc_fwd_len2160_factors_10_6_6_6_wgs_60_tpt_60_halfLds_dp_ip_CI_unitstride_sbrr_dirReg,@function
fft_rtc_fwd_len2160_factors_10_6_6_6_wgs_60_tpt_60_halfLds_dp_ip_CI_unitstride_sbrr_dirReg: ; @fft_rtc_fwd_len2160_factors_10_6_6_6_wgs_60_tpt_60_halfLds_dp_ip_CI_unitstride_sbrr_dirReg
; %bb.0:
	s_load_dwordx2 s[2:3], s[4:5], 0x50
	s_load_dwordx4 s[8:11], s[4:5], 0x0
	s_load_dwordx2 s[12:13], s[4:5], 0x18
	v_mul_u32_u24_e32 v1, 0x445, v0
	v_add_u32_sdwa v5, s6, v1 dst_sel:DWORD dst_unused:UNUSED_PAD src0_sel:DWORD src1_sel:WORD_1
	v_mov_b32_e32 v3, 0
	s_waitcnt lgkmcnt(0)
	v_cmp_lt_u64_e64 s[0:1], s[10:11], 2
	v_mov_b32_e32 v1, 0
	v_mov_b32_e32 v6, v3
	s_and_b64 vcc, exec, s[0:1]
	v_mov_b32_e32 v2, 0
	s_cbranch_vccnz .LBB0_8
; %bb.1:
	s_load_dwordx2 s[0:1], s[4:5], 0x10
	s_add_u32 s6, s12, 8
	s_addc_u32 s7, s13, 0
	v_mov_b32_e32 v1, 0
	v_mov_b32_e32 v2, 0
	s_waitcnt lgkmcnt(0)
	s_add_u32 s14, s0, 8
	s_addc_u32 s15, s1, 0
	s_mov_b64 s[16:17], 1
.LBB0_2:                                ; =>This Inner Loop Header: Depth=1
	s_load_dwordx2 s[18:19], s[14:15], 0x0
                                        ; implicit-def: $vgpr7_vgpr8
	s_waitcnt lgkmcnt(0)
	v_or_b32_e32 v4, s19, v6
	v_cmp_ne_u64_e32 vcc, 0, v[3:4]
	s_and_saveexec_b64 s[0:1], vcc
	s_xor_b64 s[20:21], exec, s[0:1]
	s_cbranch_execz .LBB0_4
; %bb.3:                                ;   in Loop: Header=BB0_2 Depth=1
	v_cvt_f32_u32_e32 v4, s18
	v_cvt_f32_u32_e32 v7, s19
	s_sub_u32 s0, 0, s18
	s_subb_u32 s1, 0, s19
	v_mac_f32_e32 v4, 0x4f800000, v7
	v_rcp_f32_e32 v4, v4
	v_mul_f32_e32 v4, 0x5f7ffffc, v4
	v_mul_f32_e32 v7, 0x2f800000, v4
	v_trunc_f32_e32 v7, v7
	v_mac_f32_e32 v4, 0xcf800000, v7
	v_cvt_u32_f32_e32 v7, v7
	v_cvt_u32_f32_e32 v4, v4
	v_mul_lo_u32 v8, s0, v7
	v_mul_hi_u32 v9, s0, v4
	v_mul_lo_u32 v11, s1, v4
	v_mul_lo_u32 v10, s0, v4
	v_add_u32_e32 v8, v9, v8
	v_add_u32_e32 v8, v8, v11
	v_mul_hi_u32 v9, v4, v10
	v_mul_lo_u32 v11, v4, v8
	v_mul_hi_u32 v13, v4, v8
	v_mul_hi_u32 v12, v7, v10
	v_mul_lo_u32 v10, v7, v10
	v_mul_hi_u32 v14, v7, v8
	v_add_co_u32_e32 v9, vcc, v9, v11
	v_addc_co_u32_e32 v11, vcc, 0, v13, vcc
	v_mul_lo_u32 v8, v7, v8
	v_add_co_u32_e32 v9, vcc, v9, v10
	v_addc_co_u32_e32 v9, vcc, v11, v12, vcc
	v_addc_co_u32_e32 v10, vcc, 0, v14, vcc
	v_add_co_u32_e32 v8, vcc, v9, v8
	v_addc_co_u32_e32 v9, vcc, 0, v10, vcc
	v_add_co_u32_e32 v4, vcc, v4, v8
	v_addc_co_u32_e32 v7, vcc, v7, v9, vcc
	v_mul_lo_u32 v8, s0, v7
	v_mul_hi_u32 v9, s0, v4
	v_mul_lo_u32 v10, s1, v4
	v_mul_lo_u32 v11, s0, v4
	v_add_u32_e32 v8, v9, v8
	v_add_u32_e32 v8, v8, v10
	v_mul_lo_u32 v12, v4, v8
	v_mul_hi_u32 v13, v4, v11
	v_mul_hi_u32 v14, v4, v8
	;; [unrolled: 1-line block ×3, first 2 shown]
	v_mul_lo_u32 v11, v7, v11
	v_mul_hi_u32 v9, v7, v8
	v_add_co_u32_e32 v12, vcc, v13, v12
	v_addc_co_u32_e32 v13, vcc, 0, v14, vcc
	v_mul_lo_u32 v8, v7, v8
	v_add_co_u32_e32 v11, vcc, v12, v11
	v_addc_co_u32_e32 v10, vcc, v13, v10, vcc
	v_addc_co_u32_e32 v9, vcc, 0, v9, vcc
	v_add_co_u32_e32 v8, vcc, v10, v8
	v_addc_co_u32_e32 v9, vcc, 0, v9, vcc
	v_add_co_u32_e32 v4, vcc, v4, v8
	v_addc_co_u32_e32 v9, vcc, v7, v9, vcc
	v_mad_u64_u32 v[7:8], s[0:1], v5, v9, 0
	v_mul_hi_u32 v10, v5, v4
	v_add_co_u32_e32 v11, vcc, v10, v7
	v_addc_co_u32_e32 v12, vcc, 0, v8, vcc
	v_mad_u64_u32 v[7:8], s[0:1], v6, v4, 0
	v_mad_u64_u32 v[9:10], s[0:1], v6, v9, 0
	v_add_co_u32_e32 v4, vcc, v11, v7
	v_addc_co_u32_e32 v4, vcc, v12, v8, vcc
	v_addc_co_u32_e32 v7, vcc, 0, v10, vcc
	v_add_co_u32_e32 v4, vcc, v4, v9
	v_addc_co_u32_e32 v9, vcc, 0, v7, vcc
	v_mul_lo_u32 v10, s19, v4
	v_mul_lo_u32 v11, s18, v9
	v_mad_u64_u32 v[7:8], s[0:1], s18, v4, 0
	v_add3_u32 v8, v8, v11, v10
	v_sub_u32_e32 v10, v6, v8
	v_mov_b32_e32 v11, s19
	v_sub_co_u32_e32 v7, vcc, v5, v7
	v_subb_co_u32_e64 v10, s[0:1], v10, v11, vcc
	v_subrev_co_u32_e64 v11, s[0:1], s18, v7
	v_subbrev_co_u32_e64 v10, s[0:1], 0, v10, s[0:1]
	v_cmp_le_u32_e64 s[0:1], s19, v10
	v_cndmask_b32_e64 v12, 0, -1, s[0:1]
	v_cmp_le_u32_e64 s[0:1], s18, v11
	v_cndmask_b32_e64 v11, 0, -1, s[0:1]
	v_cmp_eq_u32_e64 s[0:1], s19, v10
	v_cndmask_b32_e64 v10, v12, v11, s[0:1]
	v_add_co_u32_e64 v11, s[0:1], 2, v4
	v_addc_co_u32_e64 v12, s[0:1], 0, v9, s[0:1]
	v_add_co_u32_e64 v13, s[0:1], 1, v4
	v_addc_co_u32_e64 v14, s[0:1], 0, v9, s[0:1]
	v_subb_co_u32_e32 v8, vcc, v6, v8, vcc
	v_cmp_ne_u32_e64 s[0:1], 0, v10
	v_cmp_le_u32_e32 vcc, s19, v8
	v_cndmask_b32_e64 v10, v14, v12, s[0:1]
	v_cndmask_b32_e64 v12, 0, -1, vcc
	v_cmp_le_u32_e32 vcc, s18, v7
	v_cndmask_b32_e64 v7, 0, -1, vcc
	v_cmp_eq_u32_e32 vcc, s19, v8
	v_cndmask_b32_e32 v7, v12, v7, vcc
	v_cmp_ne_u32_e32 vcc, 0, v7
	v_cndmask_b32_e64 v7, v13, v11, s[0:1]
	v_cndmask_b32_e32 v8, v9, v10, vcc
	v_cndmask_b32_e32 v7, v4, v7, vcc
.LBB0_4:                                ;   in Loop: Header=BB0_2 Depth=1
	s_andn2_saveexec_b64 s[0:1], s[20:21]
	s_cbranch_execz .LBB0_6
; %bb.5:                                ;   in Loop: Header=BB0_2 Depth=1
	v_cvt_f32_u32_e32 v4, s18
	s_sub_i32 s20, 0, s18
	v_rcp_iflag_f32_e32 v4, v4
	v_mul_f32_e32 v4, 0x4f7ffffe, v4
	v_cvt_u32_f32_e32 v4, v4
	v_mul_lo_u32 v7, s20, v4
	v_mul_hi_u32 v7, v4, v7
	v_add_u32_e32 v4, v4, v7
	v_mul_hi_u32 v4, v5, v4
	v_mul_lo_u32 v7, v4, s18
	v_add_u32_e32 v8, 1, v4
	v_sub_u32_e32 v7, v5, v7
	v_subrev_u32_e32 v9, s18, v7
	v_cmp_le_u32_e32 vcc, s18, v7
	v_cndmask_b32_e32 v7, v7, v9, vcc
	v_cndmask_b32_e32 v4, v4, v8, vcc
	v_add_u32_e32 v8, 1, v4
	v_cmp_le_u32_e32 vcc, s18, v7
	v_cndmask_b32_e32 v7, v4, v8, vcc
	v_mov_b32_e32 v8, v3
.LBB0_6:                                ;   in Loop: Header=BB0_2 Depth=1
	s_or_b64 exec, exec, s[0:1]
	v_mul_lo_u32 v4, v8, s18
	v_mul_lo_u32 v11, v7, s19
	v_mad_u64_u32 v[9:10], s[0:1], v7, s18, 0
	s_load_dwordx2 s[0:1], s[6:7], 0x0
	s_add_u32 s16, s16, 1
	v_add3_u32 v4, v10, v11, v4
	v_sub_co_u32_e32 v5, vcc, v5, v9
	v_subb_co_u32_e32 v4, vcc, v6, v4, vcc
	s_waitcnt lgkmcnt(0)
	v_mul_lo_u32 v4, s0, v4
	v_mul_lo_u32 v6, s1, v5
	v_mad_u64_u32 v[1:2], s[0:1], s0, v5, v[1:2]
	s_addc_u32 s17, s17, 0
	s_add_u32 s6, s6, 8
	v_add3_u32 v2, v6, v2, v4
	v_mov_b32_e32 v4, s10
	v_mov_b32_e32 v5, s11
	s_addc_u32 s7, s7, 0
	v_cmp_ge_u64_e32 vcc, s[16:17], v[4:5]
	s_add_u32 s14, s14, 8
	s_addc_u32 s15, s15, 0
	s_cbranch_vccnz .LBB0_9
; %bb.7:                                ;   in Loop: Header=BB0_2 Depth=1
	v_mov_b32_e32 v5, v7
	v_mov_b32_e32 v6, v8
	s_branch .LBB0_2
.LBB0_8:
	v_mov_b32_e32 v8, v6
	v_mov_b32_e32 v7, v5
.LBB0_9:
	s_lshl_b64 s[0:1], s[10:11], 3
	s_add_u32 s0, s12, s0
	s_addc_u32 s1, s13, s1
	s_load_dwordx2 s[6:7], s[0:1], 0x0
	s_load_dwordx2 s[10:11], s[4:5], 0x20
                                        ; implicit-def: $vgpr30_vgpr31
                                        ; implicit-def: $vgpr34_vgpr35
                                        ; implicit-def: $vgpr26_vgpr27
                                        ; implicit-def: $vgpr22_vgpr23
                                        ; implicit-def: $vgpr38_vgpr39
                                        ; implicit-def: $vgpr14_vgpr15
                                        ; implicit-def: $vgpr10_vgpr11
                                        ; implicit-def: $vgpr18_vgpr19
                                        ; implicit-def: $vgpr50_vgpr51
                                        ; implicit-def: $vgpr70_vgpr71
                                        ; implicit-def: $vgpr62_vgpr63
                                        ; implicit-def: $vgpr74_vgpr75
                                        ; implicit-def: $vgpr58_vgpr59
                                        ; implicit-def: $vgpr54_vgpr55
                                        ; implicit-def: $vgpr66_vgpr67
                                        ; implicit-def: $vgpr42_vgpr43
                                        ; implicit-def: $vgpr46_vgpr47
                                        ; implicit-def: $vgpr90_vgpr91
                                        ; implicit-def: $vgpr98_vgpr99
                                        ; implicit-def: $vgpr110_vgpr111
                                        ; implicit-def: $vgpr106_vgpr107
                                        ; implicit-def: $vgpr122_vgpr123
                                        ; implicit-def: $vgpr82_vgpr83
                                        ; implicit-def: $vgpr102_vgpr103
                                        ; implicit-def: $vgpr86_vgpr87
                                        ; implicit-def: $vgpr78_vgpr79
                                        ; implicit-def: $vgpr94_vgpr95
                                        ; implicit-def: $vgpr130_vgpr131
                                        ; implicit-def: $vgpr146_vgpr147
                                        ; implicit-def: $vgpr142_vgpr143
                                        ; implicit-def: $vgpr150_vgpr151
                                        ; implicit-def: $vgpr134_vgpr135
                                        ; implicit-def: $vgpr118_vgpr119
                                        ; implicit-def: $vgpr114_vgpr115
                                        ; implicit-def: $vgpr138_vgpr139
                                        ; implicit-def: $vgpr126_vgpr127
                                        ; implicit-def: $vgpr154_vgpr155
                                        ; implicit-def: $vgpr158_vgpr159
	s_waitcnt lgkmcnt(0)
	v_mad_u64_u32 v[1:2], s[0:1], s6, v7, v[1:2]
	v_mul_lo_u32 v3, s6, v8
	v_mul_lo_u32 v4, s7, v7
	s_mov_b32 s0, 0x4444445
	v_mul_hi_u32 v5, v0, s0
	v_cmp_gt_u64_e64 s[0:1], s[10:11], v[7:8]
	v_add3_u32 v2, v4, v2, v3
	v_lshlrev_b64 v[162:163], 4, v[1:2]
	v_mul_u32_u24_e32 v3, 60, v5
	v_sub_u32_e32 v160, v0, v3
                                        ; implicit-def: $vgpr6_vgpr7
                                        ; implicit-def: $vgpr2_vgpr3
	s_and_saveexec_b64 s[4:5], s[0:1]
	s_cbranch_execz .LBB0_13
; %bb.10:
	v_mov_b32_e32 v161, 0
	v_mov_b32_e32 v0, s3
	v_add_co_u32_e32 v10, vcc, s2, v162
	v_addc_co_u32_e32 v11, vcc, v0, v163, vcc
	v_lshlrev_b64 v[0:1], 4, v[160:161]
	s_movk_i32 s6, 0x1000
	v_add_co_u32_e32 v30, vcc, v10, v0
	v_addc_co_u32_e32 v31, vcc, v11, v1, vcc
	v_add_co_u32_e32 v0, vcc, s6, v30
	v_addc_co_u32_e32 v1, vcc, 0, v31, vcc
	s_movk_i32 s6, 0x2000
	v_add_co_u32_e32 v2, vcc, s6, v30
	v_addc_co_u32_e32 v3, vcc, 0, v31, vcc
	s_movk_i32 s6, 0x3000
	;; [unrolled: 3-line block ×4, first 2 shown]
	v_or_b32_e32 v8, 0x6c0, v160
	v_mov_b32_e32 v9, v161
	v_add_co_u32_e32 v22, vcc, s6, v30
	v_lshlrev_b64 v[8:9], 4, v[8:9]
	v_addc_co_u32_e32 v23, vcc, 0, v31, vcc
	v_add_co_u32_e32 v8, vcc, v10, v8
	v_addc_co_u32_e32 v9, vcc, v11, v9, vcc
	s_movk_i32 s6, 0x7000
	v_add_co_u32_e32 v34, vcc, s6, v30
	v_addc_co_u32_e32 v35, vcc, 0, v31, vcc
	global_load_dwordx4 v[124:127], v[0:1], off offset:2816
	global_load_dwordx4 v[76:79], v[0:1], off offset:3776
	;; [unrolled: 1-line block ×6, first 2 shown]
	s_movk_i32 s6, 0x6000
	global_load_dwordx4 v[92:95], v[0:1], off offset:320
	global_load_dwordx4 v[44:47], v[0:1], off offset:1280
	;; [unrolled: 1-line block ×4, first 2 shown]
	v_or_b32_e32 v0, 0x300, v160
	v_mov_b32_e32 v1, v161
	v_add_co_u32_e32 v26, vcc, s6, v30
	v_lshlrev_b64 v[0:1], 4, v[0:1]
	v_addc_co_u32_e32 v27, vcc, 0, v31, vcc
	v_add_co_u32_e32 v0, vcc, v10, v0
	v_addc_co_u32_e32 v1, vcc, v11, v1, vcc
	v_add_co_u32_e32 v2, vcc, 0x8000, v30
	global_load_dwordx4 v[100:103], v[4:5], off offset:2496
	global_load_dwordx4 v[52:55], v[4:5], off offset:3456
	;; [unrolled: 1-line block ×4, first 2 shown]
	v_addc_co_u32_e32 v3, vcc, 0, v31, vcc
	global_load_dwordx4 v[64:67], v[0:1], off
	global_load_dwordx4 v[48:51], v[2:3], off offset:256
	global_load_dwordx4 v[140:143], v[8:9], off
	global_load_dwordx4 v[148:151], v[22:23], off offset:3712
	;; [unrolled: 2-line block ×3, first 2 shown]
	global_load_dwordx4 v[104:107], v[26:27], off offset:576
	global_load_dwordx4 v[96:99], v[34:35], off offset:3392
	;; [unrolled: 1-line block ×7, first 2 shown]
                                        ; kill: killed $vgpr8 killed $vgpr9
                                        ; kill: killed $vgpr2 killed $vgpr3
                                        ; kill: killed $vgpr0 killed $vgpr1
	global_load_dwordx4 v[60:63], v[26:27], off offset:1536
	global_load_dwordx4 v[144:147], v[34:35], off offset:2432
	global_load_dwordx4 v[68:71], v[34:35], off offset:896
	v_cmp_gt_u32_e32 vcc, 36, v160
                                        ; implicit-def: $vgpr16_vgpr17
                                        ; implicit-def: $vgpr0_vgpr1
                                        ; implicit-def: $vgpr4_vgpr5
                                        ; implicit-def: $vgpr8_vgpr9
                                        ; implicit-def: $vgpr12_vgpr13
                                        ; implicit-def: $vgpr36_vgpr37
                                        ; implicit-def: $vgpr20_vgpr21
                                        ; implicit-def: $vgpr24_vgpr25
                                        ; implicit-def: $vgpr32_vgpr33
                                        ; implicit-def: $vgpr28_vgpr29
	s_and_saveexec_b64 s[6:7], vcc
	s_cbranch_execz .LBB0_12
; %bb.11:
	v_add_co_u32_e32 v0, vcc, 0x1000, v30
	v_addc_co_u32_e32 v1, vcc, 0, v31, vcc
	v_add_co_u32_e32 v4, vcc, 0x2000, v30
	v_addc_co_u32_e32 v5, vcc, 0, v31, vcc
	;; [unrolled: 2-line block ×3, first 2 shown]
	v_add_co_u32_e32 v28, vcc, 0x4000, v30
	global_load_dwordx4 v[0:3], v[0:1], off offset:2240
	s_nop 0
	global_load_dwordx4 v[4:7], v[4:5], off offset:1600
	v_addc_co_u32_e32 v29, vcc, 0, v31, vcc
	global_load_dwordx4 v[8:11], v[8:9], off offset:960
	s_nop 0
	global_load_dwordx4 v[12:15], v[28:29], off offset:320
	global_load_dwordx4 v[16:19], v[30:31], off offset:2880
	s_nop 0
	global_load_dwordx4 v[20:23], v[22:23], off offset:3136
	s_nop 0
	;; [unrolled: 2-line block ×3, first 2 shown]
	global_load_dwordx4 v[32:35], v[34:35], off offset:1856
	v_add_co_u32_e32 v30, vcc, 0x8000, v30
	v_addc_co_u32_e32 v31, vcc, 0, v31, vcc
	global_load_dwordx4 v[36:39], v[28:29], off offset:3776
	s_nop 0
	global_load_dwordx4 v[28:31], v[30:31], off offset:1216
.LBB0_12:
	s_or_b64 exec, exec, s[6:7]
.LBB0_13:
	s_or_b64 exec, exec, s[4:5]
	s_waitcnt vmcnt(17)
	v_add_f64 v[164:165], v[132:133], v[112:113]
	s_waitcnt vmcnt(11)
	v_add_f64 v[166:167], v[124:125], v[156:157]
	v_add_f64 v[168:169], v[126:127], -v[142:143]
	v_add_f64 v[176:177], v[140:141], v[124:125]
	s_mov_b32 s14, 0x134454ff
	s_mov_b32 s15, 0x3fee6f0e
	v_add_f64 v[170:171], v[114:115], -v[134:135]
	v_add_f64 v[172:173], v[124:125], -v[112:113]
	v_fma_f64 v[164:165], v[164:165], -0.5, v[156:157]
	v_add_f64 v[166:167], v[112:113], v[166:167]
	v_add_f64 v[174:175], v[140:141], -v[132:133]
	v_fma_f64 v[156:157], v[176:177], -0.5, v[156:157]
	s_mov_b32 s10, 0x4755a5e
	s_mov_b32 s11, 0x3fe2cf23
	;; [unrolled: 1-line block ×4, first 2 shown]
	v_fma_f64 v[178:179], v[168:169], s[14:15], v[164:165]
	v_add_f64 v[166:167], v[132:133], v[166:167]
	v_add_f64 v[180:181], v[112:113], -v[124:125]
	v_add_f64 v[182:183], v[132:133], -v[140:141]
	v_add_f64 v[176:177], v[148:149], v[116:117]
	v_add_f64 v[172:173], v[174:175], v[172:173]
	v_fma_f64 v[164:165], v[168:169], s[6:7], v[164:165]
	v_fma_f64 v[184:185], v[170:171], s[6:7], v[156:157]
	;; [unrolled: 1-line block ×3, first 2 shown]
	v_add_f64 v[188:189], v[140:141], v[166:167]
	s_waitcnt vmcnt(1)
	v_add_f64 v[166:167], v[144:145], v[136:137]
	v_fma_f64 v[156:157], v[170:171], s[14:15], v[156:157]
	s_mov_b32 s4, 0x372fe950
	s_mov_b32 s5, 0x3fd3c6ef
	;; [unrolled: 1-line block ×4, first 2 shown]
	v_add_f64 v[178:179], v[136:137], v[152:153]
	v_add_f64 v[186:187], v[138:139], -v[146:147]
	v_fma_f64 v[176:177], v[176:177], -0.5, v[152:153]
	v_fma_f64 v[190:191], v[172:173], s[4:5], v[174:175]
	v_fma_f64 v[174:175], v[170:171], s[12:13], v[164:165]
	;; [unrolled: 1-line block ×3, first 2 shown]
	v_add_f64 v[180:181], v[182:183], v[180:181]
	v_add_f64 v[182:183], v[118:119], -v[150:151]
	v_fma_f64 v[152:153], v[166:167], -0.5, v[152:153]
	v_add_f64 v[166:167], v[136:137], -v[116:117]
	v_add_f64 v[184:185], v[144:145], -v[148:149]
	v_add_f64 v[192:193], v[150:151], v[118:119]
	v_fma_f64 v[168:169], v[168:169], s[12:13], v[156:157]
	v_add_f64 v[156:157], v[146:147], v[138:139]
	v_add_f64 v[170:171], v[116:117], v[178:179]
	v_fma_f64 v[178:179], v[186:187], s[14:15], v[176:177]
	v_fma_f64 v[196:197], v[180:181], s[4:5], v[164:165]
	;; [unrolled: 1-line block ×3, first 2 shown]
	v_add_f64 v[184:185], v[184:185], v[166:167]
	v_fma_f64 v[166:167], v[192:193], -0.5, v[154:155]
	v_add_f64 v[192:193], v[136:137], -v[144:145]
	v_add_f64 v[194:195], v[116:117], -v[148:149]
	v_fma_f64 v[156:157], v[156:157], -0.5, v[154:155]
	v_add_f64 v[116:117], v[116:117], -v[136:137]
	v_add_f64 v[136:137], v[148:149], -v[144:145]
	v_add_f64 v[170:171], v[148:149], v[170:171]
	v_fma_f64 v[178:179], v[182:183], s[10:11], v[178:179]
	v_fma_f64 v[176:177], v[186:187], s[6:7], v[176:177]
	;; [unrolled: 1-line block ×5, first 2 shown]
	v_add_f64 v[198:199], v[138:139], -v[118:119]
	v_add_f64 v[200:201], v[146:147], -v[150:151]
	v_fma_f64 v[202:203], v[194:195], s[14:15], v[156:157]
	v_add_f64 v[204:205], v[118:119], -v[138:139]
	v_add_f64 v[206:207], v[150:151], -v[146:147]
	v_fma_f64 v[156:157], v[194:195], s[6:7], v[156:157]
	v_add_f64 v[116:117], v[136:137], v[116:117]
	v_fma_f64 v[136:137], v[186:187], s[12:13], v[148:149]
	v_fma_f64 v[148:149], v[194:195], s[12:13], v[152:153]
	v_add_f64 v[186:187], v[200:201], v[198:199]
	v_fma_f64 v[152:153], v[192:193], s[14:15], v[166:167]
	;; [unrolled: 3-line block ×3, first 2 shown]
	v_fma_f64 v[166:167], v[184:185], s[4:5], v[178:179]
	v_fma_f64 v[176:177], v[182:183], s[12:13], v[176:177]
	;; [unrolled: 1-line block ×3, first 2 shown]
	s_mov_b32 s16, 0x9b97f4a8
	s_mov_b32 s17, 0x3fe9e377
	v_fma_f64 v[116:117], v[116:117], s[4:5], v[136:137]
	v_fma_f64 v[136:137], v[186:187], s[4:5], v[148:149]
	;; [unrolled: 1-line block ×5, first 2 shown]
	v_mul_f64 v[182:183], v[166:167], s[16:17]
	v_mul_f64 v[192:193], v[164:165], s[4:5]
	v_fma_f64 v[156:157], v[184:185], s[4:5], v[176:177]
	v_add_f64 v[176:177], v[120:121], v[100:101]
	v_add_f64 v[208:209], v[108:109], v[76:77]
	v_mul_f64 v[194:195], v[116:117], s[4:5]
	v_fma_f64 v[168:169], v[180:181], s[4:5], v[168:169]
	v_add_f64 v[180:181], v[144:145], v[170:171]
	v_fma_f64 v[144:145], v[186:187], s[4:5], v[178:179]
	v_fma_f64 v[178:179], v[136:137], s[10:11], v[182:183]
	;; [unrolled: 1-line block ×3, first 2 shown]
	v_add_f64 v[186:187], v[76:77], v[128:129]
	v_fma_f64 v[200:201], v[176:177], -0.5, v[128:129]
	v_add_f64 v[202:203], v[78:79], -v[110:111]
	v_add_f64 v[210:211], v[102:103], -v[122:123]
	v_fma_f64 v[128:129], v[208:209], -0.5, v[128:129]
	v_fma_f64 v[192:193], v[152:153], s[14:15], -v[194:195]
	v_fma_f64 v[204:205], v[172:173], s[4:5], v[174:175]
	v_add_f64 v[174:175], v[196:197], v[182:183]
	v_add_f64 v[186:187], v[100:101], v[186:187]
	v_add_f64 v[212:213], v[76:77], -v[100:101]
	v_fma_f64 v[198:199], v[202:203], s[14:15], v[200:201]
	v_add_f64 v[214:215], v[108:109], -v[120:121]
	v_add_f64 v[196:197], v[196:197], -v[182:183]
	v_fma_f64 v[182:183], v[210:211], s[6:7], v[128:129]
	v_add_f64 v[208:209], v[84:85], v[92:93]
	v_add_f64 v[170:171], v[180:181], v[188:189]
	;; [unrolled: 1-line block ×5, first 2 shown]
	v_add_f64 v[186:187], v[188:189], -v[180:181]
	v_add_f64 v[194:195], v[190:191], -v[178:179]
	v_fma_f64 v[178:179], v[210:211], s[10:11], v[198:199]
	v_add_f64 v[188:189], v[214:215], v[212:213]
	v_add_f64 v[198:199], v[168:169], -v[192:193]
	v_add_f64 v[168:169], v[104:105], v[80:81]
	v_fma_f64 v[180:181], v[202:203], s[6:7], v[200:201]
	v_add_f64 v[212:213], v[96:97], v[84:85]
	v_fma_f64 v[218:219], v[202:203], s[10:11], v[182:183]
	v_add_f64 v[182:183], v[80:81], v[208:209]
	v_add_f64 v[190:191], v[108:109], v[216:217]
	v_add_f64 v[192:193], v[100:101], -v[76:77]
	v_add_f64 v[200:201], v[120:121], -v[108:109]
	v_fma_f64 v[168:169], v[168:169], -0.5, v[92:93]
	v_add_f64 v[214:215], v[86:87], -v[98:99]
	v_fma_f64 v[216:217], v[210:211], s[12:13], v[180:181]
	v_fma_f64 v[128:129], v[210:211], s[14:15], v[128:129]
	v_add_f64 v[180:181], v[82:83], -v[106:107]
	v_fma_f64 v[92:93], v[212:213], -0.5, v[92:93]
	v_add_f64 v[208:209], v[84:85], -v[80:81]
	v_add_f64 v[210:211], v[96:97], -v[104:105]
	v_add_f64 v[212:213], v[106:107], v[82:83]
	v_add_f64 v[220:221], v[104:105], v[182:183]
	;; [unrolled: 1-line block ×4, first 2 shown]
	v_fma_f64 v[200:201], v[214:215], s[14:15], v[168:169]
	v_fma_f64 v[202:203], v[202:203], s[12:13], v[128:129]
	;; [unrolled: 1-line block ×4, first 2 shown]
	v_add_f64 v[208:209], v[210:211], v[208:209]
	v_fma_f64 v[210:211], v[212:213], -0.5, v[94:95]
	v_add_f64 v[212:213], v[84:85], -v[96:97]
	v_add_f64 v[222:223], v[80:81], -v[104:105]
	v_fma_f64 v[182:183], v[182:183], -0.5, v[94:95]
	v_add_f64 v[80:81], v[80:81], -v[84:85]
	v_add_f64 v[84:85], v[104:105], -v[96:97]
	v_fma_f64 v[92:93], v[180:181], s[14:15], v[92:93]
	v_fma_f64 v[200:201], v[180:181], s[10:11], v[200:201]
	;; [unrolled: 1-line block ×5, first 2 shown]
	v_add_f64 v[180:181], v[86:87], -v[82:83]
	v_add_f64 v[224:225], v[98:99], -v[106:107]
	v_fma_f64 v[210:211], v[212:213], s[14:15], v[210:211]
	v_fma_f64 v[226:227], v[222:223], s[14:15], v[182:183]
	v_add_f64 v[228:229], v[82:83], -v[86:87]
	v_add_f64 v[230:231], v[106:107], -v[98:99]
	v_add_f64 v[80:81], v[84:85], v[80:81]
	v_fma_f64 v[84:85], v[222:223], s[6:7], v[182:183]
	v_fma_f64 v[92:93], v[214:215], s[12:13], v[92:93]
	;; [unrolled: 1-line block ×3, first 2 shown]
	v_add_f64 v[214:215], v[224:225], v[180:181]
	v_fma_f64 v[210:211], v[222:223], s[10:11], v[210:211]
	v_fma_f64 v[222:223], v[212:213], s[12:13], v[226:227]
	v_add_f64 v[224:225], v[230:231], v[228:229]
	v_fma_f64 v[182:183], v[208:209], s[4:5], v[200:201]
	v_fma_f64 v[200:201], v[212:213], s[10:11], v[84:85]
	;; [unrolled: 1-line block ×5, first 2 shown]
	v_mul_f64 v[184:185], v[156:157], s[16:17]
	v_fma_f64 v[104:105], v[214:215], s[4:5], v[104:105]
	v_fma_f64 v[92:93], v[214:215], s[4:5], v[210:211]
	;; [unrolled: 1-line block ×3, first 2 shown]
	v_mul_f64 v[208:209], v[182:183], s[16:17]
	v_fma_f64 v[168:169], v[224:225], s[4:5], v[200:201]
	v_mul_f64 v[200:201], v[180:181], s[4:5]
	v_mul_f64 v[210:211], v[84:85], s[4:5]
	;; [unrolled: 1-line block ×3, first 2 shown]
	v_add_f64 v[96:97], v[96:97], v[220:221]
	s_waitcnt vmcnt(0)
	v_add_f64 v[224:225], v[68:69], v[40:41]
	v_fma_f64 v[206:207], v[144:145], s[10:11], -v[184:185]
	v_fma_f64 v[178:179], v[188:189], s[4:5], v[178:179]
	v_fma_f64 v[188:189], v[188:189], s[4:5], v[216:217]
	;; [unrolled: 1-line block ×6, first 2 shown]
	v_fma_f64 v[220:221], v[168:169], s[14:15], -v[210:211]
	v_fma_f64 v[222:223], v[92:93], s[10:11], -v[212:213]
	v_add_f64 v[202:203], v[96:97], v[190:191]
	v_add_f64 v[226:227], v[72:73], v[52:53]
	v_add_f64 v[212:213], v[190:191], -v[96:97]
	v_add_f64 v[96:97], v[54:55], -v[74:75]
	v_fma_f64 v[190:191], v[224:225], -0.5, v[88:89]
	v_add_f64 v[184:185], v[204:205], v[206:207]
	v_add_f64 v[200:201], v[204:205], -v[206:207]
	v_add_f64 v[204:205], v[178:179], v[214:215]
	v_add_f64 v[206:207], v[216:217], v[218:219]
	;; [unrolled: 1-line block ×4, first 2 shown]
	v_add_f64 v[214:215], v[178:179], -v[214:215]
	v_fma_f64 v[178:179], v[226:227], -0.5, v[88:89]
	v_add_f64 v[224:225], v[42:43], -v[70:71]
	v_add_f64 v[216:217], v[216:217], -v[218:219]
	;; [unrolled: 1-line block ×4, first 2 shown]
	v_add_f64 v[188:189], v[40:41], v[88:89]
	v_fma_f64 v[88:89], v[96:97], s[6:7], v[190:191]
	v_add_f64 v[192:193], v[52:53], -v[40:41]
	v_add_f64 v[222:223], v[72:73], -v[68:69]
	v_add_f64 v[228:229], v[60:61], v[56:57]
	v_add_f64 v[230:231], v[40:41], -v[52:53]
	v_add_f64 v[232:233], v[68:69], -v[72:73]
	v_add_f64 v[234:235], v[48:49], v[64:65]
	v_fma_f64 v[190:191], v[96:97], s[14:15], v[190:191]
	v_fma_f64 v[88:89], v[224:225], s[10:11], v[88:89]
	;; [unrolled: 1-line block ×3, first 2 shown]
	v_add_f64 v[192:193], v[222:223], v[192:193]
	v_fma_f64 v[178:179], v[224:225], s[6:7], v[178:179]
	v_fma_f64 v[222:223], v[228:229], -0.5, v[44:45]
	v_add_f64 v[228:229], v[66:67], -v[50:51]
	v_add_f64 v[236:237], v[58:59], -v[62:63]
	v_fma_f64 v[234:235], v[234:235], -0.5, v[44:45]
	v_add_f64 v[230:231], v[232:233], v[230:231]
	v_fma_f64 v[226:227], v[96:97], s[10:11], v[226:227]
	v_fma_f64 v[232:233], v[192:193], s[4:5], v[88:89]
	;; [unrolled: 1-line block ×5, first 2 shown]
	v_add_f64 v[190:191], v[64:65], -v[56:57]
	v_add_f64 v[224:225], v[48:49], -v[60:61]
	v_fma_f64 v[238:239], v[236:237], s[6:7], v[234:235]
	v_add_f64 v[240:241], v[56:57], -v[64:65]
	v_add_f64 v[242:243], v[60:61], -v[48:49]
	v_fma_f64 v[234:235], v[236:237], s[14:15], v[234:235]
	v_fma_f64 v[244:245], v[192:193], s[4:5], v[88:89]
	;; [unrolled: 1-line block ×3, first 2 shown]
	v_add_f64 v[222:223], v[50:51], v[66:67]
	v_fma_f64 v[192:193], v[236:237], s[10:11], v[96:97]
	v_add_f64 v[190:191], v[224:225], v[190:191]
	v_fma_f64 v[96:97], v[228:229], s[10:11], v[238:239]
	;; [unrolled: 2-line block ×3, first 2 shown]
	v_add_f64 v[234:235], v[62:63], v[58:59]
	v_add_f64 v[238:239], v[56:57], -v[60:61]
	v_add_f64 v[240:241], v[66:67], -v[58:59]
	;; [unrolled: 1-line block ×3, first 2 shown]
	v_fma_f64 v[222:223], v[222:223], -0.5, v[46:47]
	v_fma_f64 v[236:237], v[236:237], s[12:13], v[88:89]
	v_fma_f64 v[96:97], v[224:225], s[4:5], v[96:97]
	;; [unrolled: 1-line block ×3, first 2 shown]
	v_fma_f64 v[224:225], v[234:235], -0.5, v[46:47]
	v_add_f64 v[228:229], v[58:59], -v[66:67]
	v_add_f64 v[234:235], v[62:63], -v[50:51]
	;; [unrolled: 1-line block ×3, first 2 shown]
	v_add_f64 v[240:241], v[242:243], v[240:241]
	v_fma_f64 v[242:243], v[238:239], s[14:15], v[222:223]
	v_add_f64 v[44:45], v[64:65], v[44:45]
	v_fma_f64 v[222:223], v[238:239], s[6:7], v[222:223]
	;; [unrolled: 2-line block ×4, first 2 shown]
	v_fma_f64 v[224:225], v[246:247], s[14:15], v[224:225]
	v_fma_f64 v[242:243], v[246:247], s[12:13], v[242:243]
	v_add_f64 v[44:45], v[56:57], v[44:45]
	v_fma_f64 v[222:223], v[246:247], s[10:11], v[222:223]
	v_add_f64 v[188:189], v[72:73], v[188:189]
	v_fma_f64 v[226:227], v[230:231], s[4:5], v[226:227]
	v_fma_f64 v[178:179], v[230:231], s[4:5], v[178:179]
	;; [unrolled: 1-line block ×4, first 2 shown]
	v_mul_f64 v[224:225], v[64:65], s[16:17]
	v_add_f64 v[234:235], v[60:61], v[44:45]
	v_fma_f64 v[44:45], v[190:191], s[4:5], v[236:237]
	v_fma_f64 v[60:61], v[228:229], s[4:5], v[242:243]
	v_mul_f64 v[236:237], v[96:97], s[4:5]
	v_add_f64 v[188:189], v[68:69], v[188:189]
	v_fma_f64 v[190:191], v[228:229], s[4:5], v[222:223]
	v_mul_f64 v[222:223], v[88:89], s[4:5]
	v_fma_f64 v[192:193], v[240:241], s[4:5], v[192:193]
	v_add_f64 v[48:49], v[48:49], v[234:235]
	v_mul_f64 v[228:229], v[44:45], s[16:17]
	v_fma_f64 v[56:57], v[240:241], s[4:5], v[56:57]
	v_fma_f64 v[236:237], v[60:61], s[14:15], v[236:237]
	v_add_f64 v[242:243], v[36:37], -v[24:25]
	v_add_f64 v[246:247], v[26:27], -v[30:31]
	v_fma_f64 v[238:239], v[190:191], s[14:15], -v[222:223]
	v_cmp_gt_u32_e32 vcc, 36, v160
	v_add_f64 v[222:223], v[48:49], v[188:189]
	v_fma_f64 v[240:241], v[192:193], s[10:11], -v[228:229]
	v_fma_f64 v[234:235], v[56:57], s[10:11], v[224:225]
	v_add_f64 v[228:229], v[232:233], -v[236:237]
	v_add_f64 v[230:231], v[232:233], v[236:237]
	v_add_f64 v[236:237], v[188:189], -v[48:49]
	v_mul_u32_u24_e32 v48, 10, v160
	v_lshl_add_u32 v161, v48, 3, 0
	v_add_f64 v[48:49], v[24:25], v[36:37]
	ds_write_b128 v161, v[170:173]
	v_add_f64 v[170:171], v[10:11], -v[30:31]
	ds_write_b128 v161, v[174:177] offset:16
	v_add_f64 v[172:173], v[8:9], -v[36:37]
	v_add_f64 v[174:175], v[28:29], -v[24:25]
	v_add_f64 v[176:177], v[28:29], v[8:9]
	v_add_f64 v[224:225], v[226:227], v[234:235]
	v_fma_f64 v[48:49], v[48:49], -0.5, v[0:1]
	v_add_f64 v[226:227], v[226:227], -v[234:235]
	v_add_f64 v[234:235], v[178:179], v[240:241]
	v_add_f64 v[240:241], v[178:179], -v[240:241]
	ds_write_b128 v161, v[184:187] offset:32
	v_add_f64 v[172:173], v[174:175], v[172:173]
	v_add_f64 v[174:175], v[38:39], -v[26:27]
	v_fma_f64 v[176:177], v[176:177], -0.5, v[0:1]
	v_fma_f64 v[178:179], v[170:171], s[14:15], v[48:49]
	v_fma_f64 v[48:49], v[170:171], s[6:7], v[48:49]
	v_add_f64 v[186:187], v[24:25], -v[28:29]
	ds_write_b128 v161, v[194:197] offset:48
	v_add_f64 v[188:189], v[8:9], -v[28:29]
	v_add_f64 v[196:197], v[30:31], v[10:11]
	v_add_f64 v[232:233], v[244:245], v[238:239]
	v_fma_f64 v[184:185], v[174:175], s[6:7], v[176:177]
	v_fma_f64 v[178:179], v[174:175], s[10:11], v[178:179]
	;; [unrolled: 1-line block ×4, first 2 shown]
	v_add_f64 v[176:177], v[36:37], -v[8:9]
	v_add_f64 v[238:239], v[244:245], -v[238:239]
	v_fma_f64 v[196:197], v[196:197], -0.5, v[2:3]
	ds_write_b128 v161, v[198:201] offset:64
	ds_write_b128 v161, v[202:205] offset:4800
	;; [unrolled: 1-line block ×11, first 2 shown]
	v_fma_f64 v[184:185], v[170:171], s[10:11], v[184:185]
	v_fma_f64 v[174:175], v[170:171], s[12:13], v[174:175]
	v_add_f64 v[176:177], v[186:187], v[176:177]
	v_add_f64 v[170:171], v[10:11], -v[38:39]
	v_add_f64 v[186:187], v[30:31], -v[26:27]
	v_fma_f64 v[184:185], v[176:177], s[4:5], v[184:185]
	v_add_f64 v[186:187], v[186:187], v[170:171]
	v_add_f64 v[170:171], v[26:27], v[38:39]
	v_fma_f64 v[170:171], v[170:171], -0.5, v[2:3]
	v_fma_f64 v[194:195], v[188:189], s[6:7], v[170:171]
	v_fma_f64 v[170:171], v[188:189], s[14:15], v[170:171]
	;; [unrolled: 1-line block ×6, first 2 shown]
	v_add_f64 v[242:243], v[38:39], -v[10:11]
	v_fma_f64 v[196:197], v[188:189], s[10:11], v[196:197]
	v_add_f64 v[242:243], v[246:247], v[242:243]
	v_fma_f64 v[246:247], v[188:189], s[12:13], v[170:171]
	v_fma_f64 v[188:189], v[172:173], s[4:5], v[178:179]
	;; [unrolled: 1-line block ×8, first 2 shown]
	s_and_saveexec_b64 s[18:19], vcc
	s_cbranch_execz .LBB0_15
; %bb.14:
	v_add_f64 v[48:49], v[20:21], v[12:13]
	v_add_f64 v[194:195], v[32:33], v[4:5]
	v_add_f64 v[200:201], v[6:7], -v[34:35]
	v_add_f64 v[0:1], v[8:9], v[0:1]
	v_add_f64 v[202:203], v[14:15], -v[22:23]
	v_add_f64 v[196:197], v[4:5], -v[12:13]
	;; [unrolled: 1-line block ×4, first 2 shown]
	v_fma_f64 v[48:49], v[48:49], -0.5, v[16:17]
	v_fma_f64 v[194:195], v[194:195], -0.5, v[16:17]
	v_add_f64 v[16:17], v[4:5], v[16:17]
	v_add_f64 v[208:209], v[20:21], -v[32:33]
	v_add_f64 v[0:1], v[36:37], v[0:1]
	v_mul_f64 v[210:211], v[172:173], s[4:5]
	v_add_f64 v[196:197], v[198:199], v[196:197]
	v_mul_f64 v[8:9], v[184:185], s[4:5]
	v_fma_f64 v[36:37], v[200:201], s[14:15], v[48:49]
	v_fma_f64 v[212:213], v[200:201], s[6:7], v[48:49]
	v_add_f64 v[16:17], v[12:13], v[16:17]
	v_fma_f64 v[214:215], v[202:203], s[14:15], v[194:195]
	v_fma_f64 v[194:195], v[202:203], s[6:7], v[194:195]
	v_add_f64 v[198:199], v[208:209], v[206:207]
	v_mul_f64 v[208:209], v[188:189], s[16:17]
	v_add_f64 v[0:1], v[24:25], v[0:1]
	v_fma_f64 v[24:25], v[202:203], s[10:11], v[36:37]
	v_fma_f64 v[48:49], v[202:203], s[12:13], v[212:213]
	v_add_f64 v[16:17], v[20:21], v[16:17]
	v_fma_f64 v[206:207], v[200:201], s[12:13], v[214:215]
	v_fma_f64 v[194:195], v[200:201], s[10:11], v[194:195]
	v_mul_f64 v[204:205], v[170:171], s[16:17]
	v_fma_f64 v[216:217], v[186:187], s[14:15], -v[210:211]
	v_add_f64 v[0:1], v[28:29], v[0:1]
	v_fma_f64 v[28:29], v[174:175], s[10:11], v[208:209]
	v_fma_f64 v[24:25], v[196:197], s[4:5], v[24:25]
	v_add_f64 v[16:17], v[32:33], v[16:17]
	v_fma_f64 v[36:37], v[196:197], s[4:5], v[48:49]
	v_fma_f64 v[48:49], v[198:199], s[4:5], v[206:207]
	;; [unrolled: 1-line block ×4, first 2 shown]
	v_fma_f64 v[214:215], v[178:179], s[10:11], -v[204:205]
	v_add_f64 v[212:213], v[24:25], v[28:29]
	v_add_f64 v[210:211], v[0:1], v[16:17]
	v_add_f64 v[204:205], v[16:17], -v[0:1]
	v_add_f64 v[208:209], v[48:49], v[216:217]
	v_add_f64 v[198:199], v[24:25], -v[28:29]
	v_add_f64 v[206:207], v[194:195], v[8:9]
	v_add_f64 v[202:203], v[36:37], v[214:215]
	v_add_f64 v[200:201], v[194:195], -v[8:9]
	v_add_f64 v[196:197], v[36:37], -v[214:215]
	;; [unrolled: 1-line block ×3, first 2 shown]
	ds_write_b128 v161, v[210:213] offset:14400
	ds_write_b128 v161, v[206:209] offset:14416
	;; [unrolled: 1-line block ×5, first 2 shown]
.LBB0_15:
	s_or_b64 exec, exec, s[18:19]
	v_add_f64 v[0:1], v[134:135], v[114:115]
	v_add_f64 v[8:9], v[142:143], v[126:127]
	;; [unrolled: 1-line block ×3, first 2 shown]
	v_add_f64 v[24:25], v[124:125], -v[140:141]
	v_add_f64 v[124:125], v[138:139], v[154:155]
	v_add_f64 v[28:29], v[112:113], -v[132:133]
	v_add_f64 v[36:37], v[126:127], -v[114:115]
	;; [unrolled: 1-line block ×3, first 2 shown]
	v_fma_f64 v[0:1], v[0:1], -0.5, v[158:159]
	v_add_f64 v[112:113], v[114:115], -v[126:127]
	v_fma_f64 v[8:9], v[8:9], -0.5, v[158:159]
	v_add_f64 v[126:127], v[134:135], -v[142:143]
	v_add_f64 v[16:17], v[114:115], v[16:17]
	v_add_f64 v[118:119], v[118:119], v[124:125]
	v_mul_f64 v[132:133], v[166:167], s[12:13]
	v_add_f64 v[36:37], v[48:49], v[36:37]
	v_fma_f64 v[114:115], v[24:25], s[6:7], v[0:1]
	v_fma_f64 v[0:1], v[24:25], s[14:15], v[0:1]
	;; [unrolled: 1-line block ×4, first 2 shown]
	v_add_f64 v[48:49], v[126:127], v[112:113]
	v_add_f64 v[16:17], v[134:135], v[16:17]
	v_mul_f64 v[138:139], v[164:165], s[6:7]
	v_add_f64 v[76:77], v[76:77], -v[108:109]
	v_fma_f64 v[112:113], v[28:29], s[12:13], v[114:115]
	v_fma_f64 v[0:1], v[28:29], s[10:11], v[0:1]
	v_add_f64 v[114:115], v[150:151], v[118:119]
	v_fma_f64 v[28:29], v[24:25], s[12:13], v[140:141]
	v_fma_f64 v[8:9], v[24:25], s[10:11], v[8:9]
	v_mul_f64 v[24:25], v[152:153], s[4:5]
	v_mul_f64 v[118:119], v[144:145], s[16:17]
	v_add_f64 v[16:17], v[142:143], v[16:17]
	v_fma_f64 v[112:113], v[36:37], s[4:5], v[112:113]
	v_fma_f64 v[0:1], v[36:37], s[4:5], v[0:1]
	v_add_f64 v[36:37], v[146:147], v[114:115]
	v_fma_f64 v[28:29], v[48:49], s[4:5], v[28:29]
	v_fma_f64 v[8:9], v[48:49], s[4:5], v[8:9]
	;; [unrolled: 1-line block ×3, first 2 shown]
	v_fma_f64 v[24:25], v[116:117], s[6:7], -v[24:25]
	v_fma_f64 v[116:117], v[156:157], s[12:13], -v[118:119]
	v_add_f64 v[118:119], v[122:123], v[102:103]
	v_fma_f64 v[114:115], v[148:149], s[4:5], v[138:139]
	v_add_f64 v[132:133], v[36:37], v[16:17]
	v_add_f64 v[142:143], v[16:17], -v[36:37]
	v_add_f64 v[16:17], v[110:111], v[78:79]
	v_add_f64 v[36:37], v[78:79], v[130:131]
	;; [unrolled: 1-line block ×3, first 2 shown]
	v_add_f64 v[148:149], v[8:9], -v[24:25]
	v_fma_f64 v[118:119], v[118:119], -0.5, v[130:131]
	v_add_f64 v[8:9], v[100:101], -v[120:121]
	v_add_f64 v[134:135], v[112:113], v[48:49]
	v_add_f64 v[136:137], v[28:29], v[114:115]
	v_fma_f64 v[16:17], v[16:17], -0.5, v[130:131]
	v_add_f64 v[140:141], v[0:1], v[116:117]
	v_add_f64 v[144:145], v[112:113], -v[48:49]
	v_add_f64 v[146:147], v[28:29], -v[114:115]
	;; [unrolled: 1-line block ×3, first 2 shown]
	v_add_f64 v[0:1], v[102:103], v[36:37]
	v_fma_f64 v[24:25], v[76:77], s[6:7], v[118:119]
	v_add_f64 v[28:29], v[78:79], -v[102:103]
	v_add_f64 v[36:37], v[86:87], v[94:95]
	v_add_f64 v[48:49], v[110:111], -v[122:123]
	v_fma_f64 v[86:87], v[76:77], s[14:15], v[118:119]
	v_fma_f64 v[94:95], v[8:9], s[14:15], v[16:17]
	v_add_f64 v[78:79], v[102:103], -v[78:79]
	v_add_f64 v[100:101], v[122:123], -v[110:111]
	v_fma_f64 v[16:17], v[8:9], s[6:7], v[16:17]
	v_fma_f64 v[24:25], v[8:9], s[12:13], v[24:25]
	v_add_f64 v[36:37], v[82:83], v[36:37]
	v_add_f64 v[28:29], v[48:49], v[28:29]
	v_fma_f64 v[8:9], v[8:9], s[10:11], v[86:87]
	v_fma_f64 v[48:49], v[76:77], s[12:13], v[94:95]
	v_mul_f64 v[82:83], v[180:181], s[6:7]
	v_add_f64 v[78:79], v[100:101], v[78:79]
	v_fma_f64 v[16:17], v[76:77], s[10:11], v[16:17]
	v_add_f64 v[0:1], v[122:123], v[0:1]
	v_add_f64 v[36:37], v[106:107], v[36:37]
	v_fma_f64 v[24:25], v[28:29], s[4:5], v[24:25]
	v_fma_f64 v[8:9], v[28:29], s[4:5], v[8:9]
	v_mul_f64 v[86:87], v[92:93], s[16:17]
	v_add_f64 v[92:93], v[42:43], v[90:91]
	v_fma_f64 v[28:29], v[78:79], s[4:5], v[48:49]
	v_add_f64 v[48:49], v[74:75], v[54:55]
	v_fma_f64 v[16:17], v[78:79], s[4:5], v[16:17]
	v_fma_f64 v[78:79], v[128:129], s[4:5], v[82:83]
	v_mul_f64 v[82:83], v[168:169], s[4:5]
	v_add_f64 v[0:1], v[110:111], v[0:1]
	v_add_f64 v[36:37], v[98:99], v[36:37]
	v_add_f64 v[40:41], v[40:41], -v[68:69]
	v_mul_f64 v[76:77], v[182:183], s[12:13]
	v_fma_f64 v[48:49], v[48:49], -0.5, v[90:91]
	v_fma_f64 v[80:81], v[80:81], s[12:13], -v[86:87]
	v_add_f64 v[52:53], v[52:53], -v[72:73]
	v_fma_f64 v[68:69], v[84:85], s[6:7], -v[82:83]
	v_add_f64 v[82:83], v[70:71], v[42:43]
	v_add_f64 v[127:128], v[36:37], v[0:1]
	;; [unrolled: 1-line block ×3, first 2 shown]
	v_add_f64 v[72:73], v[42:43], -v[54:55]
	v_fma_f64 v[86:87], v[40:41], s[6:7], v[48:49]
	v_add_f64 v[92:93], v[70:71], -v[74:75]
	v_add_f64 v[158:159], v[0:1], -v[36:37]
	v_add_f64 v[36:37], v[66:67], v[46:47]
	v_fma_f64 v[82:83], v[82:83], -0.5, v[90:91]
	v_fma_f64 v[76:77], v[104:105], s[16:17], v[76:77]
	v_add_f64 v[0:1], v[74:75], v[84:85]
	v_fma_f64 v[48:49], v[40:41], s[14:15], v[48:49]
	v_fma_f64 v[46:47], v[52:53], s[12:13], v[86:87]
	v_add_f64 v[66:67], v[92:93], v[72:73]
	v_add_f64 v[42:43], v[54:55], -v[42:43]
	v_add_f64 v[54:55], v[74:75], -v[70:71]
	v_fma_f64 v[72:73], v[52:53], s[14:15], v[82:83]
	v_fma_f64 v[74:75], v[52:53], s[6:7], v[82:83]
	v_add_f64 v[36:37], v[58:59], v[36:37]
	v_add_f64 v[129:130], v[24:25], v[76:77]
	v_add_f64 v[164:165], v[24:25], -v[76:77]
	v_fma_f64 v[24:25], v[66:67], s[4:5], v[46:47]
	v_fma_f64 v[46:47], v[52:53], s[10:11], v[48:49]
	v_add_f64 v[42:43], v[54:55], v[42:43]
	v_fma_f64 v[48:49], v[40:41], s[12:13], v[72:73]
	v_fma_f64 v[40:41], v[40:41], s[10:11], v[74:75]
	v_add_f64 v[36:37], v[62:63], v[36:37]
	v_mul_f64 v[52:53], v[64:65], s[12:13]
	v_mul_f64 v[54:55], v[96:97], s[6:7]
	;; [unrolled: 1-line block ×4, first 2 shown]
	v_fma_f64 v[46:47], v[66:67], s[4:5], v[46:47]
	v_fma_f64 v[48:49], v[42:43], s[4:5], v[48:49]
	;; [unrolled: 1-line block ×3, first 2 shown]
	v_add_f64 v[36:37], v[50:51], v[36:37]
	v_fma_f64 v[42:43], v[56:57], s[16:17], v[52:53]
	v_fma_f64 v[50:51], v[60:61], s[4:5], v[54:55]
	v_fma_f64 v[52:53], v[88:89], s[6:7], -v[58:59]
	v_fma_f64 v[44:45], v[44:45], s[12:13], -v[62:63]
	v_lshl_add_u32 v113, v160, 3, 0
	v_add_f64 v[0:1], v[70:71], v[0:1]
	v_add_u32_e32 v115, 0x800, v113
	v_add_u32_e32 v123, 0x1400, v113
	;; [unrolled: 1-line block ×10, first 2 shown]
	v_add_f64 v[152:153], v[28:29], v[78:79]
	v_add_f64 v[154:155], v[16:17], v[68:69]
	v_add_f64 v[156:157], v[8:9], v[80:81]
	v_add_f64 v[166:167], v[28:29], -v[78:79]
	v_add_f64 v[180:181], v[16:17], -v[68:69]
	;; [unrolled: 1-line block ×3, first 2 shown]
	v_add_f64 v[192:193], v[24:25], v[42:43]
	v_add_f64 v[194:195], v[48:49], v[50:51]
	;; [unrolled: 1-line block ×4, first 2 shown]
	v_add_f64 v[202:203], v[24:25], -v[42:43]
	v_add_f64 v[204:205], v[48:49], -v[50:51]
	;; [unrolled: 1-line block ×4, first 2 shown]
	s_waitcnt lgkmcnt(0)
	; wave barrier
	s_waitcnt lgkmcnt(0)
	ds_read2_b64 v[48:51], v113 offset1:60
	ds_read2_b64 v[108:111], v115 offset0:104 offset1:164
	ds_read2_b64 v[104:107], v123 offset0:80 offset1:140
	;; [unrolled: 1-line block ×16, first 2 shown]
	v_add_u32_e32 v125, 0x3c00, v113
	ds_read2_b64 v[52:55], v125 offset0:120 offset1:180
	v_add_u32_e32 v126, 0xb4, v160
	v_add_f64 v[190:191], v[36:37], v[0:1]
	v_add_f64 v[200:201], v[0:1], -v[36:37]
	s_waitcnt lgkmcnt(0)
	; wave barrier
	s_waitcnt lgkmcnt(0)
	ds_write_b128 v161, v[132:135]
	ds_write_b128 v161, v[136:139] offset:16
	ds_write_b128 v161, v[140:143] offset:32
	ds_write_b128 v161, v[144:147] offset:48
	ds_write_b128 v161, v[148:151] offset:64
	ds_write_b128 v161, v[127:130] offset:4800
	ds_write_b128 v161, v[152:155] offset:4816
	ds_write_b128 v161, v[156:159] offset:4832
	ds_write_b128 v161, v[164:167] offset:4848
	ds_write_b128 v161, v[180:183] offset:4864
	ds_write_b128 v161, v[190:193] offset:9600
	ds_write_b128 v161, v[194:197] offset:9616
	ds_write_b128 v161, v[198:201] offset:9632
	ds_write_b128 v161, v[202:205] offset:9648
	ds_write_b128 v161, v[206:209] offset:9664
	s_and_saveexec_b64 s[4:5], vcc
	s_cbranch_execz .LBB0_17
; %bb.16:
	v_add_f64 v[0:1], v[22:23], v[14:15]
	v_add_f64 v[8:9], v[6:7], v[18:19]
	v_add_f64 v[12:13], v[12:13], -v[20:21]
	v_add_f64 v[20:21], v[34:35], v[6:7]
	v_add_f64 v[4:5], v[4:5], -v[32:33]
	;; [unrolled: 2-line block ×3, first 2 shown]
	v_add_f64 v[24:25], v[34:35], -v[22:23]
	v_fma_f64 v[0:1], v[0:1], -0.5, v[18:19]
	v_add_f64 v[8:9], v[14:15], v[8:9]
	s_mov_b32 s6, 0x134454ff
	v_fma_f64 v[18:19], v[20:21], -0.5, v[18:19]
	s_mov_b32 s7, 0xbfee6f0e
	s_mov_b32 s15, 0x3fee6f0e
	;; [unrolled: 1-line block ×3, first 2 shown]
	v_add_f64 v[2:3], v[38:39], v[2:3]
	v_fma_f64 v[28:29], v[4:5], s[6:7], v[0:1]
	v_fma_f64 v[0:1], v[4:5], s[14:15], v[0:1]
	v_add_f64 v[6:7], v[14:15], -v[6:7]
	v_add_f64 v[10:11], v[24:25], v[16:17]
	v_add_f64 v[8:9], v[22:23], v[8:9]
	v_fma_f64 v[16:17], v[12:13], s[14:15], v[18:19]
	v_add_f64 v[20:21], v[22:23], -v[34:35]
	v_fma_f64 v[18:19], v[12:13], s[6:7], v[18:19]
	s_mov_b32 s10, 0x4755a5e
	s_mov_b32 s11, 0xbfe2cf23
	;; [unrolled: 1-line block ×6, first 2 shown]
	v_fma_f64 v[14:15], v[12:13], s[10:11], v[28:29]
	v_fma_f64 v[0:1], v[12:13], s[16:17], v[0:1]
	v_add_f64 v[2:3], v[26:27], v[2:3]
	v_mul_f64 v[12:13], v[188:189], s[10:11]
	s_mov_b32 s14, 0x9b97f4a8
	v_add_f64 v[22:23], v[34:35], v[8:9]
	v_fma_f64 v[8:9], v[4:5], s[10:11], v[16:17]
	v_add_f64 v[6:7], v[20:21], v[6:7]
	v_fma_f64 v[4:5], v[4:5], s[16:17], v[18:19]
	s_mov_b32 s15, 0x3fe9e377
	v_mul_f64 v[16:17], v[184:185], s[6:7]
	v_mul_f64 v[18:19], v[186:187], s[12:13]
	;; [unrolled: 1-line block ×3, first 2 shown]
	v_fma_f64 v[14:15], v[10:11], s[12:13], v[14:15]
	v_fma_f64 v[24:25], v[10:11], s[12:13], v[0:1]
	v_add_f64 v[10:11], v[30:31], v[2:3]
	v_fma_f64 v[12:13], v[174:175], s[14:15], v[12:13]
	v_fma_f64 v[26:27], v[6:7], s[12:13], v[8:9]
	;; [unrolled: 1-line block ×4, first 2 shown]
	v_fma_f64 v[18:19], v[172:173], s[6:7], -v[18:19]
	v_fma_f64 v[20:21], v[170:171], s[10:11], -v[20:21]
	v_add_f64 v[0:1], v[10:11], v[22:23]
	v_add_f64 v[2:3], v[14:15], v[12:13]
	v_add_f64 v[10:11], v[22:23], -v[10:11]
	v_add_f64 v[12:13], v[14:15], -v[12:13]
	v_add_f64 v[4:5], v[26:27], v[16:17]
	v_add_f64 v[6:7], v[28:29], v[18:19]
	;; [unrolled: 1-line block ×3, first 2 shown]
	v_add_f64 v[14:15], v[26:27], -v[16:17]
	v_add_f64 v[16:17], v[28:29], -v[18:19]
	;; [unrolled: 1-line block ×3, first 2 shown]
	v_mul_u32_u24_e32 v20, 10, v126
	v_lshl_add_u32 v20, v20, 3, 0
	ds_write_b128 v20, v[0:3]
	ds_write_b128 v20, v[4:7] offset:16
	ds_write_b128 v20, v[8:11] offset:32
	;; [unrolled: 1-line block ×4, first 2 shown]
.LBB0_17:
	s_or_b64 exec, exec, s[4:5]
	s_movk_i32 s4, 0xcd
	v_mul_lo_u16_sdwa v0, v160, s4 dst_sel:DWORD dst_unused:UNUSED_PAD src0_sel:BYTE_0 src1_sel:DWORD
	v_lshrrev_b16_e32 v12, 11, v0
	v_mul_lo_u16_e32 v0, 10, v12
	v_sub_u16_e32 v13, v160, v0
	v_mov_b32_e32 v20, 5
	v_mul_u32_u24_sdwa v0, v13, v20 dst_sel:DWORD dst_unused:UNUSED_PAD src0_sel:BYTE_0 src1_sel:DWORD
	v_lshlrev_b32_e32 v0, 4, v0
	s_waitcnt lgkmcnt(0)
	; wave barrier
	s_waitcnt lgkmcnt(0)
	global_load_dwordx4 v[8:11], v0, s[8:9]
	global_load_dwordx4 v[22:25], v0, s[8:9] offset:16
	global_load_dwordx4 v[26:29], v0, s[8:9] offset:48
	;; [unrolled: 1-line block ×3, first 2 shown]
	v_add_u16_e32 v1, 60, v160
	v_mul_lo_u16_sdwa v2, v1, s4 dst_sel:DWORD dst_unused:UNUSED_PAD src0_sel:BYTE_0 src1_sel:DWORD
	v_lshrrev_b16_e32 v14, 11, v2
	v_mul_lo_u16_e32 v2, 10, v14
	v_sub_u16_e32 v15, v1, v2
	v_mul_u32_u24_sdwa v1, v15, v20 dst_sel:DWORD dst_unused:UNUSED_PAD src0_sel:BYTE_0 src1_sel:DWORD
	v_lshlrev_b32_e32 v16, 4, v1
	global_load_dwordx4 v[34:37], v16, s[8:9]
	global_load_dwordx4 v[128:131], v0, s[8:9] offset:64
	global_load_dwordx4 v[132:135], v16, s[8:9] offset:16
	;; [unrolled: 1-line block ×3, first 2 shown]
	ds_read2_b64 v[4:7], v113 offset1:60
	ds_read2_b64 v[140:143], v115 offset0:104 offset1:164
	ds_read2_b64 v[144:147], v123 offset0:80 offset1:140
	;; [unrolled: 1-line block ×4, first 2 shown]
	global_load_dwordx4 v[156:159], v16, s[8:9] offset:48
	ds_read2_b64 v[164:167], v121 offset0:8 offset1:68
	ds_read2_b64 v[0:3], v113 offset0:120 offset1:180
	;; [unrolled: 1-line block ×4, first 2 shown]
	global_load_dwordx4 v[176:179], v16, s[8:9] offset:64
	v_add_u16_e32 v127, 0x78, v160
	v_mul_lo_u16_sdwa v16, v127, s4 dst_sel:DWORD dst_unused:UNUSED_PAD src0_sel:BYTE_0 src1_sel:DWORD
	v_lshrrev_b16_e32 v16, 11, v16
	v_mul_lo_u16_e32 v17, 10, v16
	v_sub_u16_e32 v17, v127, v17
	v_mul_u32_u24_sdwa v19, v17, v20 dst_sel:DWORD dst_unused:UNUSED_PAD src0_sel:BYTE_0 src1_sel:DWORD
	v_lshlrev_b32_e32 v21, 4, v19
	global_load_dwordx4 v[180:183], v21, s[8:9] offset:16
	global_load_dwordx4 v[184:187], v21, s[8:9]
	v_mul_lo_u16_sdwa v18, v126, s4 dst_sel:DWORD dst_unused:UNUSED_PAD src0_sel:BYTE_0 src1_sel:DWORD
	v_lshrrev_b16_e32 v18, 11, v18
	v_mul_lo_u16_e32 v19, 10, v18
	v_sub_u16_e32 v19, v126, v19
	v_mul_u32_u24_sdwa v20, v19, v20 dst_sel:DWORD dst_unused:UNUSED_PAD src0_sel:BYTE_0 src1_sel:DWORD
	v_lshlrev_b32_e32 v38, 4, v20
	global_load_dwordx4 v[188:191], v21, s[8:9] offset:64
	global_load_dwordx4 v[192:195], v38, s[8:9]
	ds_read2_b64 v[196:199], v119 offset0:176 offset1:236
	ds_read2_b64 v[200:203], v124 offset0:24 offset1:84
	;; [unrolled: 1-line block ×3, first 2 shown]
	global_load_dwordx4 v[208:211], v21, s[8:9] offset:48
	global_load_dwordx4 v[212:215], v21, s[8:9] offset:32
	v_add_u32_e32 v114, 0xf0, v160
	s_mov_b32 s4, 0xcccd
	global_load_dwordx4 v[216:219], v38, s[8:9] offset:32
	global_load_dwordx4 v[220:223], v38, s[8:9] offset:16
	;; [unrolled: 1-line block ×4, first 2 shown]
	v_mul_u32_u24_sdwa v20, v114, s4 dst_sel:DWORD dst_unused:UNUSED_PAD src0_sel:WORD_0 src1_sel:DWORD
	v_lshrrev_b32_e32 v20, 19, v20
	v_mul_lo_u16_e32 v21, 10, v20
	v_sub_u16_e32 v21, v114, v21
	v_mul_u32_u24_e32 v39, 5, v21
	v_lshlrev_b32_e32 v161, 4, v39
	global_load_dwordx4 v[232:235], v161, s[8:9] offset:16
	global_load_dwordx4 v[236:239], v161, s[8:9]
	v_add_u32_e32 v112, 0x12c, v160
	s_mov_b32 s7, 0xbfebb67a
	s_movk_i32 s10, 0x89
	s_waitcnt vmcnt(21) lgkmcnt(10)
	v_mul_f64 v[38:39], v[140:141], v[10:11]
	v_mul_f64 v[10:11], v[108:109], v[10:11]
	s_waitcnt vmcnt(20) lgkmcnt(9)
	v_mul_f64 v[240:241], v[144:145], v[24:25]
	v_mul_f64 v[24:25], v[104:105], v[24:25]
	;; [unrolled: 3-line block ×3, first 2 shown]
	s_waitcnt lgkmcnt(7)
	v_mul_f64 v[244:245], v[152:153], v[28:29]
	v_fma_f64 v[246:247], v[108:109], v[8:9], -v[38:39]
	v_fma_f64 v[140:141], v[140:141], v[8:9], v[10:11]
	s_waitcnt vmcnt(17)
	v_mul_f64 v[10:11], v[142:143], v[36:37]
	v_fma_f64 v[240:241], v[104:105], v[22:23], -v[240:241]
	v_fma_f64 v[144:145], v[144:145], v[22:23], v[24:25]
	v_mul_f64 v[22:23], v[110:111], v[36:37]
	v_mul_f64 v[8:9], v[96:97], v[28:29]
	v_fma_f64 v[242:243], v[100:101], v[30:31], -v[242:243]
	v_fma_f64 v[148:149], v[148:149], v[30:31], v[32:33]
	s_waitcnt vmcnt(15)
	v_mul_f64 v[36:37], v[146:147], v[134:135]
	v_mul_f64 v[38:39], v[106:107], v[134:135]
	v_fma_f64 v[248:249], v[110:111], v[34:35], -v[10:11]
	s_waitcnt vmcnt(14)
	v_mul_f64 v[10:11], v[150:151], v[138:139]
	v_fma_f64 v[142:143], v[142:143], v[34:35], v[22:23]
	global_load_dwordx4 v[28:31], v161, s[8:9] offset:48
	global_load_dwordx4 v[32:35], v161, s[8:9] offset:32
	v_mul_u32_u24_sdwa v22, v112, s4 dst_sel:DWORD dst_unused:UNUSED_PAD src0_sel:WORD_0 src1_sel:DWORD
	v_lshrrev_b32_e32 v22, 19, v22
	v_mul_lo_u16_e32 v23, 10, v22
	v_sub_u16_e32 v23, v112, v23
	v_fma_f64 v[244:245], v[96:97], v[26:27], -v[244:245]
	v_mul_u32_u24_e32 v96, 5, v23
	v_lshlrev_b32_e32 v134, 4, v96
	s_waitcnt lgkmcnt(6)
	v_mul_f64 v[24:25], v[164:165], v[130:131]
	v_fma_f64 v[250:251], v[106:107], v[132:133], -v[36:37]
	v_fma_f64 v[146:147], v[146:147], v[132:133], v[38:39]
	v_fma_f64 v[252:253], v[102:103], v[136:137], -v[10:11]
	v_mul_f64 v[10:11], v[102:103], v[138:139]
	global_load_dwordx4 v[36:39], v161, s[8:9] offset:64
	global_load_dwordx4 v[100:103], v134, s[8:9]
	v_mul_f64 v[130:131], v[92:93], v[130:131]
	global_load_dwordx4 v[104:107], v134, s[8:9] offset:32
	global_load_dwordx4 v[108:111], v134, s[8:9] offset:16
	v_fma_f64 v[138:139], v[152:153], v[26:27], v[8:9]
	s_waitcnt vmcnt(19)
	v_mul_f64 v[96:97], v[98:99], v[158:159]
	s_waitcnt vmcnt(18)
	v_mul_f64 v[132:133], v[166:167], v[178:179]
	v_fma_f64 v[136:137], v[150:151], v[136:137], v[10:11]
	v_mul_f64 v[10:11], v[154:155], v[158:159]
	v_fma_f64 v[150:151], v[92:93], v[128:129], -v[24:25]
	global_load_dwordx4 v[24:27], v134, s[8:9] offset:48
	v_fma_f64 v[152:153], v[164:165], v[128:129], v[130:131]
	v_mul_f64 v[128:129], v[94:95], v[178:179]
	v_fma_f64 v[154:155], v[154:155], v[156:157], v[96:97]
	s_waitcnt vmcnt(15) lgkmcnt(4)
	v_mul_f64 v[178:179], v[170:171], v[194:195]
	s_mov_b32 s4, 0xe8584caa
	v_fma_f64 v[158:159], v[98:99], v[156:157], -v[10:11]
	v_fma_f64 v[156:157], v[94:95], v[176:177], -v[132:133]
	global_load_dwordx4 v[92:95], v134, s[8:9] offset:64
	v_mul_f64 v[132:133], v[168:169], v[186:187]
	v_fma_f64 v[164:165], v[166:167], v[176:177], v[128:129]
	s_waitcnt lgkmcnt(3)
	v_mul_f64 v[166:167], v[172:173], v[182:183]
	v_mul_f64 v[176:177], v[84:85], v[182:183]
	;; [unrolled: 1-line block ×3, first 2 shown]
	v_fma_f64 v[178:179], v[90:91], v[192:193], -v[178:179]
	s_waitcnt vmcnt(12)
	v_mul_f64 v[186:187], v[174:175], v[222:223]
	ds_read2_b64 v[8:11], v120 offset0:112 offset1:172
	v_fma_f64 v[182:183], v[88:89], v[184:185], -v[132:133]
	v_mul_f64 v[132:133], v[90:91], v[194:195]
	v_fma_f64 v[166:167], v[84:85], v[180:181], -v[166:167]
	v_fma_f64 v[172:173], v[172:173], v[180:181], v[176:177]
	s_waitcnt lgkmcnt(2)
	v_mul_f64 v[180:181], v[200:201], v[210:211]
	v_fma_f64 v[168:169], v[168:169], v[184:185], v[134:135]
	v_mul_f64 v[176:177], v[80:81], v[214:215]
	v_mul_f64 v[184:185], v[76:77], v[210:211]
	;; [unrolled: 1-line block ×3, first 2 shown]
	v_fma_f64 v[170:171], v[170:171], v[192:193], v[132:133]
	v_mul_f64 v[192:193], v[86:87], v[222:223]
	ds_read2_b64 v[96:99], v118 offset0:88 offset1:148
	ds_read2_b64 v[128:131], v122 offset0:192 offset1:252
	v_fma_f64 v[76:77], v[76:77], v[208:209], -v[180:181]
	s_waitcnt lgkmcnt(3)
	v_mul_f64 v[180:181], v[204:205], v[190:191]
	v_fma_f64 v[176:177], v[196:197], v[212:213], v[176:177]
	v_mul_f64 v[190:191], v[72:73], v[190:191]
	s_waitcnt vmcnt(11)
	v_mul_f64 v[196:197], v[78:79], v[226:227]
	v_mul_f64 v[194:195], v[198:199], v[218:219]
	v_fma_f64 v[174:175], v[174:175], v[220:221], v[192:193]
	v_mul_f64 v[192:193], v[82:83], v[218:219]
	ds_read2_b64 v[88:91], v117 offset0:40 offset1:100
	v_fma_f64 v[72:73], v[72:73], v[188:189], -v[180:181]
	v_mul_f64 v[180:181], v[202:203], v[226:227]
	v_fma_f64 v[188:189], v[204:205], v[188:189], v[190:191]
	s_waitcnt vmcnt(10)
	v_mul_f64 v[190:191], v[206:207], v[230:231]
	ds_read2_b64 v[132:135], v124 offset0:144 offset1:204
	v_fma_f64 v[82:83], v[82:83], v[216:217], -v[194:195]
	v_fma_f64 v[192:193], v[198:199], v[216:217], v[192:193]
	s_waitcnt vmcnt(8) lgkmcnt(3)
	v_mul_f64 v[198:199], v[96:97], v[238:239]
	v_mul_f64 v[194:195], v[74:75], v[230:231]
	v_fma_f64 v[78:79], v[78:79], v[224:225], -v[180:181]
	v_fma_f64 v[180:181], v[202:203], v[224:225], v[196:197]
	v_mul_f64 v[196:197], v[68:69], v[238:239]
	v_fma_f64 v[74:75], v[74:75], v[228:229], -v[190:191]
	s_waitcnt lgkmcnt(2)
	v_mul_f64 v[190:191], v[128:129], v[234:235]
	v_fma_f64 v[80:81], v[80:81], v[212:213], -v[84:85]
	v_fma_f64 v[68:69], v[68:69], v[236:237], -v[198:199]
	;; [unrolled: 1-line block ×3, first 2 shown]
	ds_read2_b64 v[84:87], v125 offset0:120 offset1:180
	v_fma_f64 v[184:185], v[200:201], v[208:209], v[184:185]
	s_waitcnt vmcnt(6) lgkmcnt(2)
	v_mul_f64 v[198:199], v[88:89], v[34:35]
	v_mul_f64 v[34:35], v[60:61], v[34:35]
	v_fma_f64 v[96:97], v[96:97], v[236:237], v[196:197]
	s_waitcnt lgkmcnt(1)
	v_mul_f64 v[196:197], v[132:133], v[30:31]
	v_mul_f64 v[200:201], v[64:65], v[234:235]
	v_fma_f64 v[64:65], v[64:65], v[232:233], -v[190:191]
	v_mul_f64 v[30:31], v[56:57], v[30:31]
	s_mov_b32 s5, 0x3febb67a
	v_fma_f64 v[60:61], v[60:61], v[32:33], -v[198:199]
	v_fma_f64 v[32:33], v[88:89], v[32:33], v[34:35]
	s_mov_b32 s6, s4
	v_fma_f64 v[194:195], v[206:207], v[228:229], v[194:195]
	v_fma_f64 v[128:129], v[128:129], v[232:233], v[200:201]
	s_waitcnt vmcnt(5) lgkmcnt(0)
	v_mul_f64 v[190:191], v[84:85], v[38:39]
	v_mul_f64 v[34:35], v[52:53], v[38:39]
	v_fma_f64 v[38:39], v[56:57], v[28:29], -v[196:197]
	s_waitcnt vmcnt(4)
	v_mul_f64 v[56:57], v[98:99], v[102:103]
	v_fma_f64 v[28:29], v[132:133], v[28:29], v[30:31]
	v_mul_f64 v[30:31], v[70:71], v[102:103]
	s_waitcnt vmcnt(2)
	v_mul_f64 v[88:89], v[130:131], v[110:111]
	v_mul_f64 v[102:103], v[66:67], v[110:111]
	v_fma_f64 v[52:53], v[52:53], v[36:37], -v[190:191]
	v_fma_f64 v[34:35], v[84:85], v[36:37], v[34:35]
	v_mul_f64 v[36:37], v[90:91], v[106:107]
	v_fma_f64 v[56:57], v[70:71], v[100:101], -v[56:57]
	v_mul_f64 v[70:71], v[62:63], v[106:107]
	s_waitcnt vmcnt(1)
	v_mul_f64 v[84:85], v[134:135], v[26:27]
	v_mul_f64 v[26:27], v[58:59], v[26:27]
	v_fma_f64 v[30:31], v[98:99], v[100:101], v[30:31]
	v_add_f64 v[98:99], v[242:243], v[150:151]
	v_add_f64 v[100:101], v[242:243], -v[150:151]
	v_fma_f64 v[36:37], v[62:63], v[104:105], -v[36:37]
	s_waitcnt vmcnt(0)
	v_mul_f64 v[62:63], v[86:87], v[94:95]
	v_fma_f64 v[70:71], v[90:91], v[104:105], v[70:71]
	v_add_f64 v[90:91], v[240:241], v[244:245]
	v_fma_f64 v[58:59], v[58:59], v[24:25], -v[84:85]
	v_fma_f64 v[24:25], v[134:135], v[24:25], v[26:27]
	v_add_f64 v[26:27], v[148:149], v[152:153]
	v_add_f64 v[84:85], v[48:49], v[240:241]
	v_fma_f64 v[66:67], v[66:67], v[108:109], -v[88:89]
	v_fma_f64 v[62:63], v[54:55], v[92:93], -v[62:63]
	v_mul_f64 v[54:55], v[54:55], v[94:95]
	v_fma_f64 v[48:49], v[90:91], -0.5, v[48:49]
	v_add_f64 v[90:91], v[144:145], -v[138:139]
	v_fma_f64 v[94:95], v[98:99], -0.5, v[246:247]
	v_add_f64 v[98:99], v[148:149], -v[152:153]
	v_fma_f64 v[26:27], v[26:27], -0.5, v[140:141]
	v_fma_f64 v[88:89], v[130:131], v[108:109], v[102:103]
	v_add_f64 v[104:105], v[144:145], v[138:139]
	v_add_f64 v[108:109], v[4:5], v[144:145]
	;; [unrolled: 1-line block ×3, first 2 shown]
	v_fma_f64 v[102:103], v[90:91], s[4:5], v[48:49]
	v_fma_f64 v[48:49], v[90:91], s[6:7], v[48:49]
	;; [unrolled: 1-line block ×5, first 2 shown]
	v_fma_f64 v[4:5], v[104:105], -0.5, v[4:5]
	v_fma_f64 v[26:27], v[100:101], s[4:5], v[26:27]
	v_add_f64 v[100:101], v[246:247], v[242:243]
	v_add_f64 v[84:85], v[84:85], v[244:245]
	v_add_f64 v[98:99], v[240:241], -v[244:245]
	v_mul_f64 v[110:111], v[106:107], -0.5
	v_mul_f64 v[104:105], v[90:91], s[4:5]
	v_mul_f64 v[132:133], v[94:95], s[6:7]
	v_add_f64 v[108:109], v[108:109], v[138:139]
	v_mul_f64 v[134:135], v[26:27], -0.5
	v_add_f64 v[100:101], v[100:101], v[150:151]
	v_add_f64 v[140:141], v[252:253], v[156:157]
	;; [unrolled: 1-line block ×3, first 2 shown]
	v_fma_f64 v[26:27], v[26:27], s[4:5], v[110:111]
	v_fma_f64 v[94:95], v[94:95], 0.5, v[104:105]
	v_add_f64 v[104:105], v[130:131], v[152:153]
	v_fma_f64 v[90:91], v[90:91], 0.5, v[132:133]
	v_add_f64 v[132:133], v[250:251], v[158:159]
	v_fma_f64 v[138:139], v[98:99], s[6:7], v[4:5]
	v_fma_f64 v[4:5], v[98:99], s[4:5], v[4:5]
	;; [unrolled: 1-line block ×4, first 2 shown]
	v_add_f64 v[86:87], v[84:85], v[100:101]
	v_add_f64 v[92:93], v[102:103], v[94:95]
	;; [unrolled: 1-line block ×4, first 2 shown]
	v_add_f64 v[84:85], v[84:85], -v[100:101]
	v_add_f64 v[94:95], v[102:103], -v[94:95]
	;; [unrolled: 1-line block ×3, first 2 shown]
	v_add_f64 v[48:49], v[50:51], v[250:251]
	v_fma_f64 v[50:51], v[132:133], -0.5, v[50:51]
	v_add_f64 v[100:101], v[146:147], -v[154:155]
	v_fma_f64 v[102:103], v[140:141], -0.5, v[248:249]
	v_fma_f64 v[132:133], v[144:145], -0.5, v[142:143]
	v_add_f64 v[140:141], v[252:253], -v[156:157]
	v_add_f64 v[144:145], v[136:137], -v[164:165]
	;; [unrolled: 1-line block ×3, first 2 shown]
	v_add_f64 v[108:109], v[146:147], v[154:155]
	v_add_f64 v[130:131], v[138:139], v[90:91]
	v_add_f64 v[90:91], v[138:139], -v[90:91]
	v_fma_f64 v[138:139], v[100:101], s[4:5], v[50:51]
	v_fma_f64 v[50:51], v[100:101], s[6:7], v[50:51]
	;; [unrolled: 1-line block ×4, first 2 shown]
	v_add_f64 v[146:147], v[6:7], v[146:147]
	v_fma_f64 v[6:7], v[108:109], -0.5, v[6:7]
	v_fma_f64 v[108:109], v[140:141], s[4:5], v[132:133]
	v_fma_f64 v[102:103], v[144:145], s[4:5], v[102:103]
	v_add_f64 v[132:133], v[250:251], -v[158:159]
	v_add_f64 v[140:141], v[248:249], v[252:253]
	v_mul_f64 v[144:145], v[100:101], s[4:5]
	v_mul_f64 v[150:151], v[148:149], -0.5
	v_add_f64 v[136:137], v[142:143], v[136:137]
	v_add_f64 v[48:49], v[48:49], v[158:159]
	v_mul_f64 v[152:153], v[108:109], -0.5
	v_mul_f64 v[142:143], v[102:103], s[6:7]
	v_add_f64 v[146:147], v[146:147], v[154:155]
	v_fma_f64 v[154:155], v[132:133], s[6:7], v[6:7]
	v_add_f64 v[140:141], v[140:141], v[156:157]
	v_fma_f64 v[102:103], v[102:103], 0.5, v[144:145]
	v_fma_f64 v[108:109], v[108:109], s[4:5], v[150:151]
	v_add_f64 v[136:137], v[136:137], v[164:165]
	v_fma_f64 v[6:7], v[132:133], s[4:5], v[6:7]
	v_fma_f64 v[132:133], v[148:149], s[6:7], v[152:153]
	v_add_f64 v[152:153], v[166:167], v[76:77]
	v_add_f64 v[158:159], v[80:81], v[72:73]
	;; [unrolled: 1-line block ×4, first 2 shown]
	v_fma_f64 v[100:101], v[100:101], 0.5, v[142:143]
	v_add_f64 v[4:5], v[4:5], -v[98:99]
	v_add_f64 v[98:99], v[48:49], v[140:141]
	v_add_f64 v[142:143], v[138:139], v[102:103]
	;; [unrolled: 1-line block ×4, first 2 shown]
	v_add_f64 v[48:49], v[48:49], -v[140:141]
	v_add_f64 v[102:103], v[138:139], -v[102:103]
	;; [unrolled: 1-line block ×3, first 2 shown]
	v_add_f64 v[108:109], v[44:45], v[166:167]
	v_fma_f64 v[44:45], v[152:153], -0.5, v[44:45]
	v_add_f64 v[138:139], v[172:173], -v[184:185]
	v_fma_f64 v[140:141], v[158:159], -0.5, v[182:183]
	v_fma_f64 v[152:153], v[164:165], -0.5, v[168:169]
	v_add_f64 v[158:159], v[80:81], -v[72:73]
	v_add_f64 v[164:165], v[176:177], -v[188:189]
	;; [unrolled: 1-line block ×3, first 2 shown]
	v_add_f64 v[146:147], v[172:173], v[184:185]
	v_add_f64 v[150:151], v[154:155], v[100:101]
	v_add_f64 v[100:101], v[154:155], -v[100:101]
	v_fma_f64 v[154:155], v[138:139], s[4:5], v[44:45]
	v_fma_f64 v[44:45], v[138:139], s[6:7], v[44:45]
	;; [unrolled: 1-line block ×4, first 2 shown]
	v_add_f64 v[172:173], v[0:1], v[172:173]
	v_fma_f64 v[0:1], v[146:147], -0.5, v[0:1]
	v_fma_f64 v[146:147], v[158:159], s[4:5], v[152:153]
	v_add_f64 v[108:109], v[108:109], v[76:77]
	v_fma_f64 v[140:141], v[164:165], s[4:5], v[140:141]
	v_add_f64 v[76:77], v[166:167], -v[76:77]
	v_add_f64 v[80:81], v[182:183], v[80:81]
	v_mul_f64 v[152:153], v[138:139], s[4:5]
	v_mul_f64 v[158:159], v[190:191], -0.5
	v_add_f64 v[164:165], v[168:169], v[176:177]
	v_add_f64 v[168:169], v[172:173], v[184:185]
	v_mul_f64 v[172:173], v[146:147], -0.5
	v_mul_f64 v[166:167], v[140:141], s[6:7]
	v_fma_f64 v[176:177], v[76:77], s[6:7], v[0:1]
	v_add_f64 v[72:73], v[80:81], v[72:73]
	v_fma_f64 v[80:81], v[140:141], 0.5, v[152:153]
	v_fma_f64 v[140:141], v[146:147], s[4:5], v[158:159]
	v_add_f64 v[146:147], v[164:165], v[188:189]
	v_fma_f64 v[0:1], v[76:77], s[4:5], v[0:1]
	v_fma_f64 v[76:77], v[190:191], s[6:7], v[172:173]
	v_add_f64 v[172:173], v[186:187], v[78:79]
	v_add_f64 v[184:185], v[82:83], v[74:75]
	;; [unrolled: 1-line block ×4, first 2 shown]
	v_fma_f64 v[138:139], v[138:139], 0.5, v[166:167]
	v_add_f64 v[6:7], v[6:7], -v[132:133]
	v_add_f64 v[132:133], v[108:109], v[72:73]
	v_add_f64 v[152:153], v[154:155], v[80:81]
	v_add_f64 v[158:159], v[44:45], v[140:141]
	v_add_f64 v[164:165], v[168:169], v[146:147]
	v_add_f64 v[72:73], v[108:109], -v[72:73]
	v_add_f64 v[80:81], v[154:155], -v[80:81]
	v_add_f64 v[44:45], v[44:45], -v[140:141]
	v_add_f64 v[108:109], v[46:47], v[186:187]
	v_fma_f64 v[46:47], v[172:173], -0.5, v[46:47]
	v_add_f64 v[140:141], v[174:175], -v[180:181]
	v_fma_f64 v[154:155], v[184:185], -0.5, v[178:179]
	v_fma_f64 v[172:173], v[188:189], -0.5, v[170:171]
	v_add_f64 v[184:185], v[82:83], -v[74:75]
	v_add_f64 v[188:189], v[192:193], -v[194:195]
	;; [unrolled: 1-line block ×3, first 2 shown]
	v_add_f64 v[168:169], v[174:175], v[180:181]
	v_add_f64 v[166:167], v[176:177], v[138:139]
	v_add_f64 v[138:139], v[176:177], -v[138:139]
	v_fma_f64 v[176:177], v[140:141], s[4:5], v[46:47]
	v_fma_f64 v[46:47], v[140:141], s[6:7], v[46:47]
	;; [unrolled: 1-line block ×4, first 2 shown]
	v_add_f64 v[174:175], v[2:3], v[174:175]
	v_fma_f64 v[154:155], v[188:189], s[4:5], v[154:155]
	v_fma_f64 v[2:3], v[168:169], -0.5, v[2:3]
	v_fma_f64 v[168:169], v[184:185], s[4:5], v[172:173]
	v_add_f64 v[108:109], v[108:109], v[78:79]
	v_add_f64 v[78:79], v[186:187], -v[78:79]
	v_add_f64 v[82:83], v[178:179], v[82:83]
	v_mul_f64 v[172:173], v[140:141], s[4:5]
	v_mul_f64 v[178:179], v[190:191], -0.5
	v_mul_f64 v[184:185], v[154:155], s[6:7]
	v_add_f64 v[174:175], v[174:175], v[180:181]
	v_mul_f64 v[180:181], v[168:169], -0.5
	v_add_f64 v[170:171], v[170:171], v[192:193]
	v_fma_f64 v[186:187], v[78:79], s[6:7], v[2:3]
	v_add_f64 v[74:75], v[82:83], v[74:75]
	v_fma_f64 v[82:83], v[154:155], 0.5, v[172:173]
	v_fma_f64 v[154:155], v[168:169], s[4:5], v[178:179]
	v_fma_f64 v[140:141], v[140:141], 0.5, v[184:185]
	v_fma_f64 v[2:3], v[78:79], s[4:5], v[2:3]
	v_fma_f64 v[78:79], v[190:191], s[6:7], v[180:181]
	v_add_f64 v[184:185], v[64:65], v[38:39]
	v_add_f64 v[190:191], v[60:61], v[52:53]
	;; [unrolled: 1-line block ×5, first 2 shown]
	v_add_f64 v[170:171], v[0:1], -v[76:77]
	v_add_f64 v[0:1], v[108:109], v[74:75]
	v_add_f64 v[76:77], v[176:177], v[82:83]
	v_add_f64 v[172:173], v[46:47], v[154:155]
	v_add_f64 v[74:75], v[108:109], -v[74:75]
	v_add_f64 v[82:83], v[176:177], -v[82:83]
	;; [unrolled: 1-line block ×3, first 2 shown]
	v_add_f64 v[108:109], v[40:41], v[64:65]
	v_fma_f64 v[40:41], v[184:185], -0.5, v[40:41]
	v_add_f64 v[154:155], v[128:129], -v[28:29]
	v_fma_f64 v[176:177], v[190:191], -0.5, v[68:69]
	v_fma_f64 v[184:185], v[192:193], -0.5, v[96:97]
	v_add_f64 v[190:191], v[60:61], -v[52:53]
	v_add_f64 v[192:193], v[32:33], -v[34:35]
	v_add_f64 v[178:179], v[174:175], v[168:169]
	v_add_f64 v[180:181], v[186:187], v[140:141]
	v_add_f64 v[168:169], v[174:175], -v[168:169]
	v_add_f64 v[140:141], v[186:187], -v[140:141]
	v_add_f64 v[174:175], v[128:129], v[28:29]
	v_fma_f64 v[186:187], v[154:155], s[4:5], v[40:41]
	v_fma_f64 v[40:41], v[154:155], s[6:7], v[40:41]
	;; [unrolled: 1-line block ×4, first 2 shown]
	v_add_f64 v[108:109], v[108:109], v[38:39]
	v_add_f64 v[128:129], v[8:9], v[128:129]
	v_fma_f64 v[176:177], v[192:193], s[4:5], v[176:177]
	v_fma_f64 v[8:9], v[174:175], -0.5, v[8:9]
	v_fma_f64 v[174:175], v[190:191], s[4:5], v[184:185]
	v_add_f64 v[38:39], v[64:65], -v[38:39]
	v_add_f64 v[60:61], v[68:69], v[60:61]
	v_mul_f64 v[64:65], v[154:155], s[4:5]
	v_mul_f64 v[68:69], v[194:195], -0.5
	v_add_f64 v[32:33], v[96:97], v[32:33]
	v_mul_f64 v[96:97], v[176:177], s[6:7]
	v_add_f64 v[28:29], v[128:129], v[28:29]
	v_mul_f64 v[128:129], v[174:175], -0.5
	v_add_f64 v[190:191], v[36:37], v[62:63]
	v_add_f64 v[52:53], v[60:61], v[52:53]
	v_fma_f64 v[60:61], v[176:177], 0.5, v[64:65]
	v_fma_f64 v[64:65], v[174:175], s[4:5], v[68:69]
	v_add_f64 v[174:175], v[66:67], v[58:59]
	v_add_f64 v[192:193], v[70:71], v[54:55]
	;; [unrolled: 1-line block ×4, first 2 shown]
	v_fma_f64 v[34:35], v[154:155], 0.5, v[96:97]
	v_add_f64 v[96:97], v[2:3], -v[78:79]
	v_add_f64 v[68:69], v[186:187], v[60:61]
	v_add_f64 v[78:79], v[40:41], v[64:65]
	v_add_f64 v[60:61], v[186:187], -v[60:61]
	v_add_f64 v[40:41], v[40:41], -v[64:65]
	v_add_f64 v[64:65], v[42:43], v[66:67]
	v_fma_f64 v[42:43], v[174:175], -0.5, v[42:43]
	v_fma_f64 v[174:175], v[190:191], -0.5, v[56:57]
	;; [unrolled: 1-line block ×3, first 2 shown]
	v_add_f64 v[190:191], v[36:37], -v[62:63]
	v_add_f64 v[2:3], v[108:109], v[52:53]
	v_add_f64 v[52:53], v[108:109], -v[52:53]
	v_add_f64 v[108:109], v[88:89], -v[24:25]
	;; [unrolled: 1-line block ×3, first 2 shown]
	v_fma_f64 v[184:185], v[38:39], s[6:7], v[8:9]
	v_fma_f64 v[8:9], v[38:39], s[4:5], v[8:9]
	;; [unrolled: 1-line block ×3, first 2 shown]
	v_add_f64 v[128:129], v[28:29], v[32:33]
	v_add_f64 v[194:195], v[88:89], v[24:25]
	v_add_f64 v[196:197], v[28:29], -v[32:33]
	v_add_f64 v[28:29], v[64:65], v[58:59]
	v_add_f64 v[64:65], v[10:11], v[88:89]
	v_fma_f64 v[88:89], v[190:191], s[6:7], v[186:187]
	v_fma_f64 v[186:187], v[190:191], s[4:5], v[186:187]
	;; [unrolled: 1-line block ×5, first 2 shown]
	v_fma_f64 v[10:11], v[194:195], -0.5, v[10:11]
	v_add_f64 v[58:59], v[66:67], -v[58:59]
	v_add_f64 v[36:37], v[56:57], v[36:37]
	v_add_f64 v[30:31], v[30:31], v[70:71]
	v_mul_f64 v[70:71], v[186:187], -0.5
	v_fma_f64 v[174:175], v[192:193], s[4:5], v[174:175]
	v_mul_f64 v[56:57], v[88:89], s[4:5]
	v_add_f64 v[24:25], v[64:65], v[24:25]
	v_mul_f64 v[64:65], v[108:109], -0.5
	v_fma_f64 v[190:191], v[58:59], s[6:7], v[10:11]
	v_fma_f64 v[10:11], v[58:59], s[4:5], v[10:11]
	v_add_f64 v[36:37], v[36:37], v[62:63]
	v_fma_f64 v[62:63], v[108:109], s[6:7], v[70:71]
	v_mul_f64 v[66:67], v[174:175], s[6:7]
	v_fma_f64 v[56:57], v[174:175], 0.5, v[56:57]
	v_add_f64 v[154:155], v[184:185], v[34:35]
	v_fma_f64 v[58:59], v[186:187], s[4:5], v[64:65]
	v_add_f64 v[176:177], v[8:9], v[38:39]
	v_add_f64 v[30:31], v[30:31], v[54:55]
	v_add_f64 v[64:65], v[184:185], -v[34:35]
	v_add_f64 v[186:187], v[10:11], v[62:63]
	v_add_f64 v[194:195], v[10:11], -v[62:63]
	v_mov_b32_e32 v11, 3
	v_fma_f64 v[54:55], v[88:89], 0.5, v[66:67]
	v_add_f64 v[108:109], v[8:9], -v[38:39]
	v_add_f64 v[8:9], v[28:29], v[36:37]
	v_add_f64 v[34:35], v[32:33], v[56:57]
	v_mul_u32_u24_e32 v10, 0x1e0, v12
	v_lshlrev_b32_sdwa v12, v11, v13 dst_sel:DWORD dst_unused:UNUSED_PAD src0_sel:DWORD src1_sel:BYTE_0
	v_add_f64 v[38:39], v[42:43], v[58:59]
	v_add_f64 v[28:29], v[28:29], -v[36:37]
	v_add3_u32 v12, 0, v10, v12
	v_mul_u32_u24_e32 v10, 0x1e0, v14
	v_lshlrev_b32_sdwa v13, v11, v15 dst_sel:DWORD dst_unused:UNUSED_PAD src0_sel:DWORD src1_sel:BYTE_0
	v_add_f64 v[32:33], v[32:33], -v[56:57]
	v_add_f64 v[36:37], v[42:43], -v[58:59]
	v_add3_u32 v13, 0, v10, v13
	v_mul_u32_u24_e32 v10, 0x1e0, v16
	v_lshlrev_b32_sdwa v14, v11, v17 dst_sel:DWORD dst_unused:UNUSED_PAD src0_sel:DWORD src1_sel:BYTE_0
	v_add3_u32 v14, 0, v10, v14
	v_mul_u32_u24_e32 v10, 0x1e0, v18
	v_lshlrev_b32_sdwa v11, v11, v19 dst_sel:DWORD dst_unused:UNUSED_PAD src0_sel:DWORD src1_sel:BYTE_0
	v_add3_u32 v15, 0, v10, v11
	s_waitcnt lgkmcnt(0)
	; wave barrier
	ds_write2_b64 v12, v[86:87], v[92:93] offset1:10
	ds_write2_b64 v12, v[106:107], v[84:85] offset0:20 offset1:30
	ds_write2_b64 v12, v[94:95], v[26:27] offset0:40 offset1:50
	ds_write2_b64 v13, v[98:99], v[142:143] offset1:10
	ds_write2_b64 v13, v[144:145], v[48:49] offset0:20 offset1:30
	ds_write2_b64 v13, v[102:103], v[50:51] offset0:40 offset1:50
	;; [unrolled: 3-line block ×4, first 2 shown]
	v_mul_u32_u24_e32 v0, 0x1e0, v20
	v_lshlrev_b32_e32 v1, 3, v21
	v_add3_u32 v20, 0, v0, v1
	v_mul_u32_u24_e32 v0, 0x1e0, v22
	v_lshlrev_b32_e32 v1, 3, v23
	v_add3_u32 v21, 0, v0, v1
	v_add_f64 v[174:175], v[24:25], v[30:31]
	v_add_f64 v[184:185], v[190:191], v[54:55]
	v_add_f64 v[192:193], v[24:25], -v[30:31]
	v_add_f64 v[190:191], v[190:191], -v[54:55]
	ds_write2_b64 v20, v[2:3], v[68:69] offset1:10
	ds_write2_b64 v20, v[78:79], v[52:53] offset0:20 offset1:30
	ds_write2_b64 v20, v[60:61], v[40:41] offset0:40 offset1:50
	ds_write2_b64 v21, v[8:9], v[34:35] offset1:10
	ds_write2_b64 v21, v[38:39], v[28:29] offset0:20 offset1:30
	ds_write2_b64 v21, v[32:33], v[36:37] offset0:40 offset1:50
	s_waitcnt lgkmcnt(0)
	; wave barrier
	s_waitcnt lgkmcnt(0)
	ds_read2_b64 v[16:19], v113 offset1:60
	ds_read2_b64 v[66:69], v115 offset0:104 offset1:164
	ds_read2_b64 v[70:73], v123 offset0:80 offset1:140
	;; [unrolled: 1-line block ×17, first 2 shown]
	s_waitcnt lgkmcnt(0)
	; wave barrier
	s_waitcnt lgkmcnt(0)
	ds_write2_b64 v12, v[110:111], v[130:131] offset1:10
	ds_write2_b64 v12, v[134:135], v[104:105] offset0:20 offset1:30
	ds_write2_b64 v12, v[90:91], v[4:5] offset0:40 offset1:50
	ds_write2_b64 v13, v[148:149], v[150:151] offset1:10
	ds_write2_b64 v13, v[156:157], v[136:137] offset0:20 offset1:30
	ds_write2_b64 v13, v[100:101], v[6:7] offset0:40 offset1:50
	;; [unrolled: 3-line block ×6, first 2 shown]
	v_mul_u32_u24_e32 v4, 5, v160
	v_lshlrev_b32_e32 v84, 4, v4
	s_waitcnt lgkmcnt(0)
	; wave barrier
	s_waitcnt lgkmcnt(0)
	global_load_dwordx4 v[89:92], v84, s[8:9] offset:800
	global_load_dwordx4 v[93:96], v84, s[8:9] offset:816
	;; [unrolled: 1-line block ×4, first 2 shown]
	ds_read2_b64 v[20:23], v113 offset1:60
	ds_read2_b64 v[105:108], v115 offset0:104 offset1:164
	ds_read2_b64 v[128:131], v123 offset0:80 offset1:140
	;; [unrolled: 1-line block ×4, first 2 shown]
	global_load_dwordx4 v[140:143], v84, s[8:9] offset:864
	v_mul_lo_u16_sdwa v64, v127, s10 dst_sel:DWORD dst_unused:UNUSED_PAD src0_sel:BYTE_0 src1_sel:DWORD
	v_lshrrev_b16_e32 v64, 13, v64
	v_mul_lo_u16_e32 v64, 60, v64
	v_sub_u16_e32 v64, v127, v64
	v_and_b32_e32 v64, 0xff, v64
	v_mul_u32_u24_e32 v65, 5, v64
	v_lshlrev_b32_e32 v65, 4, v65
	ds_read2_b64 v[144:147], v121 offset0:8 offset1:68
	ds_read2_b64 v[12:15], v113 offset0:120 offset1:180
	ds_read2_b64 v[148:151], v116 offset0:96 offset1:156
	ds_read2_b64 v[152:155], v122 offset0:72 offset1:132
	ds_read2_b64 v[156:159], v119 offset0:176 offset1:236
	ds_read2_b64 v[164:167], v124 offset0:24 offset1:84
	ds_read2_b64 v[168:171], v121 offset0:128 offset1:188
	ds_read2_b64 v[4:7], v120 offset0:112 offset1:172
	global_load_dwordx4 v[172:175], v65, s[8:9] offset:800
	global_load_dwordx4 v[176:179], v65, s[8:9] offset:832
	;; [unrolled: 1-line block ×3, first 2 shown]
	ds_read2_b64 v[184:187], v118 offset0:88 offset1:148
	global_load_dwordx4 v[188:191], v65, s[8:9] offset:848
	global_load_dwordx4 v[192:195], v65, s[8:9] offset:864
	v_mul_lo_u16_sdwa v65, v126, s10 dst_sel:DWORD dst_unused:UNUSED_PAD src0_sel:BYTE_0 src1_sel:DWORD
	v_lshrrev_b16_e32 v65, 13, v65
	v_mul_lo_u16_e32 v65, 60, v65
	v_sub_u16_e32 v65, v126, v65
	v_and_b32_e32 v65, 0xff, v65
	v_mul_u32_u24_e32 v111, 5, v65
	v_lshlrev_b32_e32 v111, 4, v111
	global_load_dwordx4 v[196:199], v111, s[8:9] offset:816
	global_load_dwordx4 v[200:203], v111, s[8:9] offset:800
	ds_read2_b64 v[204:207], v122 offset0:192 offset1:252
	s_mov_b32 s10, 0x8889
	s_waitcnt vmcnt(11) lgkmcnt(13)
	v_mul_f64 v[82:83], v[105:106], v[91:92]
	s_waitcnt vmcnt(10) lgkmcnt(12)
	v_mul_f64 v[208:209], v[128:129], v[95:96]
	v_mul_f64 v[210:211], v[70:71], v[95:96]
	s_waitcnt vmcnt(9) lgkmcnt(11)
	v_mul_f64 v[212:213], v[132:133], v[99:100]
	v_mul_f64 v[214:215], v[74:75], v[99:100]
	;; [unrolled: 1-line block ×3, first 2 shown]
	s_waitcnt vmcnt(8) lgkmcnt(10)
	v_mul_f64 v[236:237], v[136:137], v[103:104]
	v_mul_f64 v[238:239], v[78:79], v[103:104]
	v_fma_f64 v[228:229], v[66:67], v[89:90], -v[82:83]
	v_fma_f64 v[230:231], v[70:71], v[93:94], -v[208:209]
	v_fma_f64 v[232:233], v[128:129], v[93:94], v[210:211]
	global_load_dwordx4 v[126:129], v111, s[8:9] offset:848
	global_load_dwordx4 v[208:211], v111, s[8:9] offset:832
	v_mul_u32_u24_sdwa v66, v114, s10 dst_sel:DWORD dst_unused:UNUSED_PAD src0_sel:WORD_0 src1_sel:DWORD
	v_lshrrev_b32_e32 v66, 21, v66
	v_mul_lo_u16_e32 v66, 60, v66
	v_sub_u16_e32 v66, v114, v66
	v_mul_u32_u24_e32 v67, 5, v66
	v_lshlrev_b32_e32 v67, 4, v67
	v_fma_f64 v[234:235], v[74:75], v[97:98], -v[212:213]
	v_fma_f64 v[132:133], v[132:133], v[97:98], v[214:215]
	global_load_dwordx4 v[212:215], v111, s[8:9] offset:864
	global_load_dwordx4 v[216:219], v67, s[8:9] offset:800
	v_mul_f64 v[70:71], v[107:108], v[91:92]
	v_mul_f64 v[74:75], v[68:69], v[91:92]
	;; [unrolled: 1-line block ×4, first 2 shown]
	global_load_dwordx4 v[220:223], v67, s[8:9] offset:832
	global_load_dwordx4 v[224:227], v67, s[8:9] offset:816
	v_fma_f64 v[109:110], v[105:106], v[89:90], v[109:110]
	s_waitcnt vmcnt(13) lgkmcnt(9)
	v_mul_f64 v[246:247], v[144:145], v[142:143]
	v_fma_f64 v[236:237], v[78:79], v[101:102], -v[236:237]
	v_fma_f64 v[240:241], v[68:69], v[89:90], -v[70:71]
	v_fma_f64 v[242:243], v[107:108], v[89:90], v[74:75]
	v_fma_f64 v[244:245], v[72:73], v[93:94], -v[82:83]
	global_load_dwordx4 v[68:71], v67, s[8:9] offset:848
	global_load_dwordx4 v[72:75], v67, s[8:9] offset:864
	v_mul_u32_u24_sdwa v67, v112, s10 dst_sel:DWORD dst_unused:UNUSED_PAD src0_sel:WORD_0 src1_sel:DWORD
	v_lshrrev_b32_e32 v67, 21, v67
	v_mul_lo_u16_e32 v67, 60, v67
	v_sub_u16_e32 v67, v112, v67
	v_mul_u32_u24_e32 v89, 5, v67
	v_lshlrev_b32_e32 v111, 4, v89
	v_fma_f64 v[130:131], v[130:131], v[93:94], v[91:92]
	v_mul_f64 v[82:83], v[134:135], v[99:100]
	v_mul_f64 v[99:100], v[76:77], v[99:100]
	global_load_dwordx4 v[89:92], v111, s[8:9] offset:816
	global_load_dwordx4 v[93:96], v111, s[8:9] offset:800
	v_fma_f64 v[136:137], v[136:137], v[101:102], v[238:239]
	v_fma_f64 v[238:239], v[85:86], v[140:141], -v[246:247]
	v_mul_f64 v[248:249], v[85:86], v[142:143]
	s_waitcnt vmcnt(16) lgkmcnt(7)
	v_mul_f64 v[85:86], v[148:149], v[174:175]
	v_fma_f64 v[250:251], v[76:77], v[97:98], -v[82:83]
	v_fma_f64 v[134:135], v[134:135], v[97:98], v[99:100]
	v_mul_f64 v[76:77], v[138:139], v[103:104]
	global_load_dwordx4 v[97:100], v111, s[8:9] offset:848
	global_load_dwordx4 v[105:108], v111, s[8:9] offset:832
	v_mul_f64 v[82:83], v[80:81], v[103:104]
	v_mul_f64 v[103:104], v[146:147], v[142:143]
	v_fma_f64 v[144:145], v[144:145], v[140:141], v[248:249]
	v_fma_f64 v[246:247], v[80:81], v[101:102], -v[76:77]
	global_load_dwordx4 v[76:79], v111, s[8:9] offset:864
	v_mul_f64 v[80:81], v[87:88], v[142:143]
	v_fma_f64 v[101:102], v[138:139], v[101:102], v[82:83]
	s_waitcnt vmcnt(17) lgkmcnt(6)
	v_mul_f64 v[138:139], v[152:153], v[182:183]
	v_mul_f64 v[142:143], v[56:57], v[182:183]
	v_fma_f64 v[103:104], v[87:88], v[140:141], -v[103:104]
	v_mul_f64 v[87:88], v[60:61], v[174:175]
	v_fma_f64 v[174:175], v[60:61], v[172:173], -v[85:86]
	v_mul_f64 v[60:61], v[52:53], v[178:179]
	v_fma_f64 v[140:141], v[146:147], v[140:141], v[80:81]
	s_waitcnt lgkmcnt(5)
	v_mul_f64 v[146:147], v[156:157], v[178:179]
	v_fma_f64 v[56:57], v[56:57], v[180:181], -v[138:139]
	v_fma_f64 v[138:139], v[152:153], v[180:181], v[142:143]
	s_waitcnt vmcnt(16) lgkmcnt(4)
	v_mul_f64 v[142:143], v[164:165], v[190:191]
	v_mul_f64 v[152:153], v[48:49], v[190:191]
	v_fma_f64 v[148:149], v[148:149], v[172:173], v[87:88]
	s_waitcnt vmcnt(15)
	v_mul_f64 v[172:173], v[44:45], v[194:195]
	v_fma_f64 v[156:157], v[156:157], v[176:177], v[60:61]
	v_fma_f64 v[52:53], v[52:53], v[176:177], -v[146:147]
	s_waitcnt lgkmcnt(3)
	v_mul_f64 v[146:147], v[168:169], v[194:195]
	s_waitcnt vmcnt(13)
	v_mul_f64 v[60:61], v[150:151], v[202:203]
	v_fma_f64 v[48:49], v[48:49], v[188:189], -v[142:143]
	v_fma_f64 v[142:143], v[164:165], v[188:189], v[152:153]
	v_mul_f64 v[152:153], v[62:63], v[202:203]
	v_mul_f64 v[164:165], v[154:155], v[198:199]
	ds_read2_b64 v[80:83], v117 offset0:40 offset1:100
	ds_read2_b64 v[85:88], v124 offset0:144 offset1:204
	v_fma_f64 v[44:45], v[44:45], v[192:193], -v[146:147]
	v_fma_f64 v[146:147], v[168:169], v[192:193], v[172:173]
	v_mul_f64 v[168:169], v[58:59], v[198:199]
	s_waitcnt vmcnt(12)
	v_mul_f64 v[178:179], v[166:167], v[128:129]
	s_waitcnt vmcnt(11)
	v_mul_f64 v[176:177], v[158:159], v[210:211]
	v_fma_f64 v[150:151], v[150:151], v[200:201], v[152:153]
	v_mul_f64 v[152:153], v[54:55], v[210:211]
	v_fma_f64 v[58:59], v[58:59], v[196:197], -v[164:165]
	v_mul_f64 v[128:129], v[50:51], v[128:129]
	v_fma_f64 v[172:173], v[62:63], v[200:201], -v[60:61]
	v_fma_f64 v[154:155], v[154:155], v[196:197], v[168:169]
	v_fma_f64 v[50:51], v[50:51], v[126:127], -v[178:179]
	v_fma_f64 v[54:55], v[54:55], v[208:209], -v[176:177]
	s_waitcnt vmcnt(10)
	v_mul_f64 v[164:165], v[170:171], v[214:215]
	v_mul_f64 v[168:169], v[46:47], v[214:215]
	v_fma_f64 v[152:153], v[158:159], v[208:209], v[152:153]
	s_waitcnt vmcnt(9) lgkmcnt(3)
	v_mul_f64 v[158:159], v[184:185], v[218:219]
	v_mul_f64 v[176:177], v[40:41], v[218:219]
	v_fma_f64 v[126:127], v[166:167], v[126:127], v[128:129]
	s_waitcnt vmcnt(7) lgkmcnt(2)
	v_mul_f64 v[128:129], v[204:205], v[226:227]
	v_mul_f64 v[166:167], v[36:37], v[226:227]
	v_fma_f64 v[46:47], v[46:47], v[212:213], -v[164:165]
	v_fma_f64 v[164:165], v[170:171], v[212:213], v[168:169]
	s_waitcnt lgkmcnt(1)
	v_mul_f64 v[168:169], v[80:81], v[222:223]
	v_fma_f64 v[40:41], v[40:41], v[216:217], -v[158:159]
	v_fma_f64 v[158:159], v[184:185], v[216:217], v[176:177]
	s_waitcnt vmcnt(6) lgkmcnt(0)
	v_mul_f64 v[176:177], v[85:86], v[70:71]
	v_mul_f64 v[70:71], v[28:29], v[70:71]
	ds_read2_b64 v[60:63], v125 offset0:120 offset1:180
	v_mul_f64 v[170:171], v[32:33], v[222:223]
	v_fma_f64 v[36:37], v[36:37], v[224:225], -v[128:129]
	v_fma_f64 v[128:129], v[204:205], v[224:225], v[166:167]
	v_fma_f64 v[32:33], v[32:33], v[220:221], -v[168:169]
	s_waitcnt vmcnt(5) lgkmcnt(0)
	v_mul_f64 v[166:167], v[60:61], v[74:75]
	v_mul_f64 v[74:75], v[24:25], v[74:75]
	v_fma_f64 v[28:29], v[28:29], v[68:69], -v[176:177]
	s_waitcnt vmcnt(3)
	v_mul_f64 v[168:169], v[186:187], v[95:96]
	v_fma_f64 v[68:69], v[85:86], v[68:69], v[70:71]
	v_mul_f64 v[70:71], v[42:43], v[95:96]
	v_mul_f64 v[85:86], v[206:207], v[91:92]
	v_add_f64 v[95:96], v[234:235], -v[238:239]
	v_fma_f64 v[24:25], v[24:25], v[72:73], -v[166:167]
	v_fma_f64 v[60:61], v[60:61], v[72:73], v[74:75]
	v_mul_f64 v[72:73], v[38:39], v[91:92]
	v_fma_f64 v[42:43], v[42:43], v[93:94], -v[168:169]
	s_waitcnt vmcnt(1)
	v_mul_f64 v[74:75], v[82:83], v[107:108]
	v_mul_f64 v[91:92], v[34:35], v[107:108]
	v_fma_f64 v[70:71], v[186:187], v[93:94], v[70:71]
	v_fma_f64 v[38:39], v[38:39], v[89:90], -v[85:86]
	v_mul_f64 v[85:86], v[87:88], v[99:100]
	v_mul_f64 v[93:94], v[30:31], v[99:100]
	v_fma_f64 v[72:73], v[206:207], v[89:90], v[72:73]
	v_add_f64 v[89:90], v[234:235], v[238:239]
	v_fma_f64 v[34:35], v[34:35], v[105:106], -v[74:75]
	v_add_f64 v[74:75], v[230:231], v[236:237]
	v_fma_f64 v[82:83], v[82:83], v[105:106], v[91:92]
	v_add_f64 v[91:92], v[132:133], v[144:145]
	v_fma_f64 v[30:31], v[30:31], v[97:98], -v[85:86]
	v_fma_f64 v[85:86], v[87:88], v[97:98], v[93:94]
	s_waitcnt vmcnt(0)
	v_mul_f64 v[87:88], v[62:63], v[78:79]
	v_add_f64 v[93:94], v[16:17], v[230:231]
	v_fma_f64 v[89:90], v[89:90], -0.5, v[228:229]
	v_fma_f64 v[16:17], v[74:75], -0.5, v[16:17]
	v_add_f64 v[74:75], v[232:233], -v[136:137]
	v_fma_f64 v[91:92], v[91:92], -0.5, v[109:110]
	v_add_f64 v[97:98], v[132:133], -v[144:145]
	v_add_f64 v[107:108], v[20:21], v[232:233]
	v_fma_f64 v[87:88], v[26:27], v[76:77], -v[87:88]
	v_mul_f64 v[26:27], v[26:27], v[78:79]
	v_add_f64 v[78:79], v[232:233], v[136:137]
	v_add_f64 v[109:110], v[109:110], v[132:133]
	v_fma_f64 v[99:100], v[74:75], s[4:5], v[16:17]
	v_fma_f64 v[16:17], v[74:75], s[6:7], v[16:17]
	;; [unrolled: 1-line block ×5, first 2 shown]
	v_add_f64 v[107:108], v[107:108], v[136:137]
	v_fma_f64 v[20:21], v[78:79], -0.5, v[20:21]
	v_fma_f64 v[78:79], v[95:96], s[4:5], v[91:92]
	v_add_f64 v[91:92], v[230:231], -v[236:237]
	v_add_f64 v[95:96], v[228:229], v[234:235]
	v_mul_f64 v[97:98], v[74:75], s[4:5]
	v_mul_f64 v[166:167], v[105:106], -0.5
	v_mul_f64 v[132:133], v[89:90], s[6:7]
	v_fma_f64 v[80:81], v[80:81], v[220:221], v[170:171]
	v_add_f64 v[93:94], v[93:94], v[236:237]
	v_mul_f64 v[136:137], v[78:79], -0.5
	v_fma_f64 v[168:169], v[91:92], s[6:7], v[20:21]
	v_add_f64 v[95:96], v[95:96], v[238:239]
	v_fma_f64 v[89:90], v[89:90], 0.5, v[97:98]
	v_fma_f64 v[78:79], v[78:79], s[4:5], v[166:167]
	v_add_f64 v[97:98], v[109:110], v[144:145]
	v_fma_f64 v[74:75], v[74:75], 0.5, v[132:133]
	v_fma_f64 v[20:21], v[91:92], s[4:5], v[20:21]
	v_fma_f64 v[91:92], v[105:106], s[6:7], v[136:137]
	v_add_f64 v[136:137], v[244:245], v[246:247]
	v_add_f64 v[166:167], v[250:251], v[103:104]
	;; [unrolled: 1-line block ×3, first 2 shown]
	v_fma_f64 v[26:27], v[62:63], v[76:77], v[26:27]
	v_add_f64 v[62:63], v[93:94], v[95:96]
	v_add_f64 v[76:77], v[99:100], v[89:90]
	;; [unrolled: 1-line block ×5, first 2 shown]
	v_add_f64 v[93:94], v[93:94], -v[95:96]
	v_add_f64 v[89:90], v[99:100], -v[89:90]
	;; [unrolled: 1-line block ×3, first 2 shown]
	v_add_f64 v[78:79], v[18:19], v[244:245]
	v_fma_f64 v[18:19], v[136:137], -0.5, v[18:19]
	v_add_f64 v[95:96], v[130:131], -v[101:102]
	v_fma_f64 v[99:100], v[166:167], -0.5, v[240:241]
	v_fma_f64 v[136:137], v[170:171], -0.5, v[242:243]
	v_add_f64 v[166:167], v[250:251], -v[103:104]
	v_add_f64 v[170:171], v[134:135], -v[140:141]
	;; [unrolled: 1-line block ×4, first 2 shown]
	v_add_f64 v[74:75], v[130:131], v[101:102]
	v_fma_f64 v[168:169], v[95:96], s[4:5], v[18:19]
	v_fma_f64 v[18:19], v[95:96], s[6:7], v[18:19]
	v_add_f64 v[130:131], v[22:23], v[130:131]
	v_fma_f64 v[95:96], v[166:167], s[6:7], v[136:137]
	v_fma_f64 v[176:177], v[170:171], s[6:7], v[99:100]
	;; [unrolled: 1-line block ×3, first 2 shown]
	v_add_f64 v[78:79], v[78:79], v[246:247]
	v_fma_f64 v[22:23], v[74:75], -0.5, v[22:23]
	v_fma_f64 v[74:75], v[166:167], s[4:5], v[136:137]
	v_add_f64 v[166:167], v[240:241], v[250:251]
	v_add_f64 v[101:102], v[130:131], v[101:102]
	v_mul_f64 v[170:171], v[95:96], s[4:5]
	v_mul_f64 v[178:179], v[176:177], -0.5
	v_mul_f64 v[180:181], v[99:100], s[6:7]
	v_add_f64 v[136:137], v[244:245], -v[246:247]
	v_add_f64 v[134:135], v[242:243], v[134:135]
	v_mul_f64 v[130:131], v[74:75], -0.5
	v_add_f64 v[103:104], v[166:167], v[103:104]
	v_add_f64 v[184:185], v[156:157], v[146:147]
	v_fma_f64 v[99:100], v[99:100], 0.5, v[170:171]
	v_fma_f64 v[74:75], v[74:75], s[4:5], v[178:179]
	v_fma_f64 v[95:96], v[95:96], 0.5, v[180:181]
	v_add_f64 v[180:181], v[52:53], v[44:45]
	v_add_f64 v[144:145], v[20:21], v[91:92]
	v_fma_f64 v[130:131], v[176:177], s[6:7], v[130:131]
	v_add_f64 v[176:177], v[56:57], v[48:49]
	v_fma_f64 v[182:183], v[136:137], s[6:7], v[22:23]
	;; [unrolled: 2-line block ×3, first 2 shown]
	v_add_f64 v[91:92], v[20:21], -v[91:92]
	v_add_f64 v[20:21], v[78:79], v[103:104]
	v_add_f64 v[136:137], v[168:169], v[99:100]
	;; [unrolled: 1-line block ×3, first 2 shown]
	v_add_f64 v[78:79], v[78:79], -v[103:104]
	v_add_f64 v[99:100], v[168:169], -v[99:100]
	v_add_f64 v[18:19], v[18:19], -v[74:75]
	v_add_f64 v[74:75], v[8:9], v[56:57]
	v_fma_f64 v[8:9], v[176:177], -0.5, v[8:9]
	v_add_f64 v[103:104], v[138:139], -v[142:143]
	v_fma_f64 v[168:169], v[180:181], -0.5, v[174:175]
	v_fma_f64 v[176:177], v[184:185], -0.5, v[148:149]
	v_add_f64 v[180:181], v[52:53], -v[44:45]
	v_add_f64 v[184:185], v[156:157], -v[146:147]
	v_add_f64 v[166:167], v[101:102], v[134:135]
	v_add_f64 v[170:171], v[182:183], v[95:96]
	v_add_f64 v[101:102], v[101:102], -v[134:135]
	v_add_f64 v[95:96], v[182:183], -v[95:96]
	v_add_f64 v[134:135], v[138:139], v[142:143]
	v_fma_f64 v[182:183], v[103:104], s[4:5], v[8:9]
	v_fma_f64 v[8:9], v[103:104], s[6:7], v[8:9]
	;; [unrolled: 1-line block ×4, first 2 shown]
	v_add_f64 v[74:75], v[74:75], v[48:49]
	v_add_f64 v[138:139], v[12:13], v[138:139]
	v_fma_f64 v[168:169], v[184:185], s[4:5], v[168:169]
	v_fma_f64 v[12:13], v[134:135], -0.5, v[12:13]
	v_fma_f64 v[134:135], v[180:181], s[4:5], v[176:177]
	v_add_f64 v[48:49], v[56:57], -v[48:49]
	v_add_f64 v[52:53], v[174:175], v[52:53]
	v_mul_f64 v[56:57], v[103:104], s[4:5]
	v_mul_f64 v[174:175], v[186:187], -0.5
	v_add_f64 v[148:149], v[148:149], v[156:157]
	v_mul_f64 v[156:157], v[168:169], s[6:7]
	v_add_f64 v[138:139], v[138:139], v[142:143]
	v_mul_f64 v[142:143], v[134:135], -0.5
	v_add_f64 v[180:181], v[54:55], v[46:47]
	v_add_f64 v[44:45], v[52:53], v[44:45]
	v_fma_f64 v[52:53], v[168:169], 0.5, v[56:57]
	v_fma_f64 v[56:57], v[134:135], s[4:5], v[174:175]
	v_add_f64 v[168:169], v[58:59], v[50:51]
	v_add_f64 v[184:185], v[152:153], v[164:165]
	;; [unrolled: 1-line block ×3, first 2 shown]
	v_fma_f64 v[176:177], v[48:49], s[6:7], v[12:13]
	v_add_f64 v[134:135], v[148:149], v[146:147]
	v_fma_f64 v[103:104], v[103:104], 0.5, v[156:157]
	v_fma_f64 v[12:13], v[48:49], s[4:5], v[12:13]
	v_fma_f64 v[48:49], v[186:187], s[6:7], v[142:143]
	v_add_f64 v[130:131], v[22:23], -v[130:131]
	v_add_f64 v[22:23], v[74:75], v[44:45]
	v_add_f64 v[142:143], v[182:183], v[52:53]
	;; [unrolled: 1-line block ×3, first 2 shown]
	v_add_f64 v[44:45], v[74:75], -v[44:45]
	v_add_f64 v[52:53], v[182:183], -v[52:53]
	;; [unrolled: 1-line block ×3, first 2 shown]
	v_add_f64 v[56:57], v[10:11], v[58:59]
	v_fma_f64 v[10:11], v[168:169], -0.5, v[10:11]
	v_add_f64 v[74:75], v[154:155], -v[126:127]
	v_fma_f64 v[168:169], v[180:181], -0.5, v[172:173]
	v_fma_f64 v[180:181], v[184:185], -0.5, v[150:151]
	v_add_f64 v[182:183], v[54:55], -v[46:47]
	v_add_f64 v[184:185], v[152:153], -v[164:165]
	v_add_f64 v[148:149], v[138:139], v[134:135]
	v_add_f64 v[156:157], v[176:177], v[103:104]
	v_add_f64 v[134:135], v[138:139], -v[134:135]
	v_add_f64 v[103:104], v[176:177], -v[103:104]
	v_add_f64 v[138:139], v[154:155], v[126:127]
	v_fma_f64 v[176:177], v[74:75], s[4:5], v[10:11]
	v_fma_f64 v[10:11], v[74:75], s[6:7], v[10:11]
	v_fma_f64 v[74:75], v[182:183], s[6:7], v[180:181]
	v_fma_f64 v[186:187], v[184:185], s[6:7], v[168:169]
	v_add_f64 v[56:57], v[56:57], v[50:51]
	v_add_f64 v[154:155], v[14:15], v[154:155]
	v_fma_f64 v[168:169], v[184:185], s[4:5], v[168:169]
	v_fma_f64 v[14:15], v[138:139], -0.5, v[14:15]
	v_fma_f64 v[138:139], v[182:183], s[4:5], v[180:181]
	v_add_f64 v[50:51], v[58:59], -v[50:51]
	v_add_f64 v[54:55], v[172:173], v[54:55]
	v_mul_f64 v[58:59], v[74:75], s[4:5]
	v_mul_f64 v[172:173], v[186:187], -0.5
	v_add_f64 v[150:151], v[150:151], v[152:153]
	v_mul_f64 v[152:153], v[168:169], s[6:7]
	v_add_f64 v[182:183], v[32:33], v[24:25]
	v_add_f64 v[184:185], v[80:81], v[60:61]
	;; [unrolled: 1-line block ×4, first 2 shown]
	v_fma_f64 v[54:55], v[168:169], 0.5, v[58:59]
	v_fma_f64 v[58:59], v[138:139], s[4:5], v[172:173]
	v_add_f64 v[168:169], v[36:37], v[28:29]
	v_add_f64 v[126:127], v[154:155], v[126:127]
	v_mul_f64 v[154:155], v[138:139], -0.5
	v_fma_f64 v[180:181], v[50:51], s[6:7], v[14:15]
	v_add_f64 v[138:139], v[150:151], v[164:165]
	v_fma_f64 v[74:75], v[74:75], 0.5, v[152:153]
	v_add_f64 v[150:151], v[12:13], -v[48:49]
	v_add_f64 v[12:13], v[56:57], v[46:47]
	v_add_f64 v[48:49], v[176:177], v[54:55]
	;; [unrolled: 1-line block ×3, first 2 shown]
	v_add_f64 v[46:47], v[56:57], -v[46:47]
	v_add_f64 v[54:55], v[176:177], -v[54:55]
	;; [unrolled: 1-line block ×3, first 2 shown]
	v_add_f64 v[56:57], v[0:1], v[36:37]
	v_fma_f64 v[0:1], v[168:169], -0.5, v[0:1]
	v_add_f64 v[58:59], v[128:129], -v[68:69]
	v_fma_f64 v[168:169], v[182:183], -0.5, v[40:41]
	v_fma_f64 v[176:177], v[184:185], -0.5, v[158:159]
	v_add_f64 v[182:183], v[32:33], -v[24:25]
	v_add_f64 v[184:185], v[80:81], -v[60:61]
	v_fma_f64 v[14:15], v[50:51], s[4:5], v[14:15]
	v_fma_f64 v[50:51], v[186:187], s[6:7], v[154:155]
	v_add_f64 v[154:155], v[126:127], v[138:139]
	v_add_f64 v[164:165], v[180:181], v[74:75]
	v_add_f64 v[126:127], v[126:127], -v[138:139]
	v_add_f64 v[138:139], v[180:181], -v[74:75]
	v_add_f64 v[74:75], v[128:129], v[68:69]
	v_fma_f64 v[180:181], v[58:59], s[4:5], v[0:1]
	v_fma_f64 v[0:1], v[58:59], s[6:7], v[0:1]
	;; [unrolled: 1-line block ×4, first 2 shown]
	v_add_f64 v[56:57], v[56:57], v[28:29]
	v_add_f64 v[128:129], v[4:5], v[128:129]
	v_fma_f64 v[168:169], v[184:185], s[4:5], v[168:169]
	v_fma_f64 v[4:5], v[74:75], -0.5, v[4:5]
	v_fma_f64 v[74:75], v[182:183], s[4:5], v[176:177]
	v_add_f64 v[28:29], v[36:37], -v[28:29]
	v_add_f64 v[32:33], v[40:41], v[32:33]
	v_mul_f64 v[36:37], v[58:59], s[4:5]
	v_mul_f64 v[40:41], v[186:187], -0.5
	v_add_f64 v[80:81], v[158:159], v[80:81]
	v_add_f64 v[182:183], v[34:35], v[87:88]
	;; [unrolled: 1-line block ×6, first 2 shown]
	v_fma_f64 v[32:33], v[168:169], 0.5, v[36:37]
	v_fma_f64 v[36:37], v[74:75], s[4:5], v[40:41]
	v_add_f64 v[40:41], v[80:81], v[60:61]
	v_add_f64 v[80:81], v[38:39], v[30:31]
	v_mul_f64 v[128:129], v[74:75], -0.5
	v_add_f64 v[60:61], v[14:15], -v[50:51]
	v_fma_f64 v[176:177], v[28:29], s[6:7], v[4:5]
	v_add_f64 v[14:15], v[56:57], v[24:25]
	v_add_f64 v[50:51], v[180:181], v[32:33]
	;; [unrolled: 1-line block ×3, first 2 shown]
	v_add_f64 v[24:25], v[56:57], -v[24:25]
	v_add_f64 v[32:33], v[180:181], -v[32:33]
	;; [unrolled: 1-line block ×3, first 2 shown]
	v_add_f64 v[36:37], v[2:3], v[38:39]
	v_fma_f64 v[2:3], v[80:81], -0.5, v[2:3]
	v_add_f64 v[56:57], v[72:73], -v[85:86]
	v_fma_f64 v[80:81], v[182:183], -0.5, v[42:43]
	v_fma_f64 v[180:181], v[184:185], -0.5, v[70:71]
	v_add_f64 v[182:183], v[34:35], -v[87:88]
	v_add_f64 v[184:185], v[82:83], -v[26:27]
	v_fma_f64 v[4:5], v[28:29], s[4:5], v[4:5]
	v_fma_f64 v[28:29], v[186:187], s[6:7], v[128:129]
	v_add_f64 v[128:129], v[68:69], v[40:41]
	v_add_f64 v[186:187], v[72:73], v[85:86]
	v_add_f64 v[188:189], v[68:69], -v[40:41]
	v_fma_f64 v[40:41], v[56:57], s[4:5], v[2:3]
	v_add_f64 v[68:69], v[6:7], v[72:73]
	v_fma_f64 v[2:3], v[56:57], s[6:7], v[2:3]
	v_fma_f64 v[56:57], v[182:183], s[6:7], v[180:181]
	;; [unrolled: 1-line block ×5, first 2 shown]
	v_add_f64 v[36:37], v[36:37], v[30:31]
	v_fma_f64 v[6:7], v[186:187], -0.5, v[6:7]
	v_add_f64 v[30:31], v[38:39], -v[30:31]
	v_add_f64 v[38:39], v[68:69], v[85:86]
	v_add_f64 v[34:35], v[42:43], v[34:35]
	v_mul_f64 v[42:43], v[56:57], s[4:5]
	v_mul_f64 v[68:69], v[72:73], -0.5
	v_mul_f64 v[158:159], v[168:169], s[6:7]
	v_add_f64 v[70:71], v[70:71], v[82:83]
	v_mul_f64 v[82:83], v[80:81], s[6:7]
	v_mul_f64 v[85:86], v[180:181], -0.5
	v_fma_f64 v[182:183], v[30:31], s[6:7], v[6:7]
	v_fma_f64 v[6:7], v[30:31], s[4:5], v[6:7]
	v_add_f64 v[30:31], v[34:35], v[87:88]
	v_fma_f64 v[34:35], v[80:81], 0.5, v[42:43]
	v_fma_f64 v[42:43], v[180:181], s[4:5], v[68:69]
	v_fma_f64 v[58:59], v[58:59], 0.5, v[158:159]
	v_fma_f64 v[56:57], v[56:57], 0.5, v[82:83]
	v_fma_f64 v[68:69], v[72:73], s[6:7], v[85:86]
	v_add_f64 v[168:169], v[4:5], v[28:29]
	v_add_f64 v[26:27], v[70:71], v[26:27]
	v_add_f64 v[85:86], v[4:5], -v[28:29]
	v_add_f64 v[4:5], v[36:37], v[30:31]
	v_add_f64 v[28:29], v[40:41], v[34:35]
	;; [unrolled: 1-line block ×3, first 2 shown]
	v_add_f64 v[34:35], v[40:41], -v[34:35]
	v_add_f64 v[2:3], v[2:3], -v[42:43]
	;; [unrolled: 1-line block ×3, first 2 shown]
	v_add_f64 v[158:159], v[176:177], v[58:59]
	v_add_f64 v[58:59], v[176:177], -v[58:59]
	v_add_f64 v[176:177], v[182:183], v[56:57]
	v_add_f64 v[180:181], v[6:7], v[68:69]
	v_add_f64 v[56:57], v[182:183], -v[56:57]
	v_add_f64 v[182:183], v[6:7], -v[68:69]
	v_lshl_add_u32 v6, v64, 3, 0
	s_waitcnt lgkmcnt(0)
	; wave barrier
	ds_write2_b64 v113, v[62:63], v[76:77] offset1:60
	ds_write2_b64 v113, v[105:106], v[93:94] offset0:120 offset1:180
	ds_write2_b64 v120, v[89:90], v[16:17] offset0:112 offset1:172
	;; [unrolled: 1-line block ×5, first 2 shown]
	v_add_u32_e32 v62, 0x1400, v6
	v_add_u32_e32 v63, 0x1800, v6
	v_lshl_add_u32 v6, v65, 3, 0
	ds_write2_b64 v62, v[22:23], v[142:143] offset0:80 offset1:140
	ds_write2_b64 v63, v[146:147], v[44:45] offset0:72 offset1:132
	ds_write2_b64 v63, v[52:53], v[8:9] offset0:192 offset1:252
	v_add_u32_e32 v52, 0x2000, v6
	v_add_u32_e32 v53, 0x2800, v6
	v_lshl_add_u32 v6, v66, 3, 0
	ds_write2_b64 v52, v[12:13], v[48:49] offset0:56 offset1:116
	ds_write2_b64 v52, v[152:153], v[46:47] offset0:176 offset1:236
	;; [unrolled: 1-line block ×3, first 2 shown]
	v_add_u32_e32 v54, 0x2800, v6
	v_add_u32_e32 v55, 0x3000, v6
	ds_write2_b64 v54, v[14:15], v[50:51] offset0:160 offset1:220
	ds_write2_b64 v55, v[74:75], v[24:25] offset0:24 offset1:84
	;; [unrolled: 1-line block ×3, first 2 shown]
	v_lshl_add_u32 v0, v67, 3, 0
	v_add_u32_e32 v89, 0x3800, v0
	v_add_u32_e32 v90, 0x3c00, v0
	v_add_f64 v[87:88], v[38:39], v[26:27]
	v_add_f64 v[184:185], v[38:39], -v[26:27]
	ds_write2_b64 v89, v[4:5], v[28:29] offset0:8 offset1:68
	ds_write2_b64 v89, v[70:71], v[30:31] offset0:128 offset1:188
	;; [unrolled: 1-line block ×3, first 2 shown]
	s_waitcnt lgkmcnt(0)
	; wave barrier
	s_waitcnt lgkmcnt(0)
	ds_read2_b64 v[0:3], v113 offset1:60
	ds_read2_b64 v[12:15], v115 offset0:104 offset1:164
	ds_read2_b64 v[4:7], v123 offset0:80 offset1:140
	;; [unrolled: 1-line block ×17, first 2 shown]
	s_waitcnt lgkmcnt(0)
	; wave barrier
	s_waitcnt lgkmcnt(0)
	ds_write2_b64 v113, v[109:110], v[132:133] offset1:60
	ds_write2_b64 v113, v[144:145], v[97:98] offset0:120 offset1:180
	ds_write2_b64 v120, v[107:108], v[91:92] offset0:112 offset1:172
	;; [unrolled: 1-line block ×17, first 2 shown]
	s_waitcnt lgkmcnt(0)
	; wave barrier
	s_waitcnt lgkmcnt(0)
	s_and_saveexec_b64 s[10:11], s[0:1]
	s_cbranch_execz .LBB0_19
; %bb.18:
	v_mul_u32_u24_e32 v52, 5, v112
	v_lshlrev_b32_e32 v52, 4, v52
	v_mov_b32_e32 v98, s9
	v_add_co_u32_e32 v52, vcc, s8, v52
	v_addc_co_u32_e32 v53, vcc, 0, v98, vcc
	v_add_co_u32_e32 v89, vcc, 0x15e0, v52
	v_addc_co_u32_e32 v90, vcc, 0, v53, vcc
	;; [unrolled: 2-line block ×3, first 2 shown]
	global_load_dwordx4 v[52:55], v[99:100], off offset:1504
	global_load_dwordx4 v[56:59], v[89:90], off offset:48
	;; [unrolled: 1-line block ×4, first 2 shown]
	v_mov_b32_e32 v89, 0xfffffed4
	v_mov_b32_e32 v107, 0
	v_mad_u32_u24 v106, v112, 5, v89
	v_lshlrev_b64 v[89:90], 4, v[106:107]
	s_movk_i32 s9, 0x15e0
	v_add_co_u32_e32 v97, vcc, s8, v89
	v_addc_co_u32_e32 v103, vcc, v98, v90, vcc
	v_add_co_u32_e32 v101, vcc, s9, v97
	v_addc_co_u32_e32 v102, vcc, 0, v103, vcc
	global_load_dwordx4 v[89:92], v[99:100], off offset:1568
	global_load_dwordx4 v[93:96], v[101:102], off offset:16
	s_movk_i32 s0, 0x1000
	v_add_co_u32_e32 v99, vcc, s0, v97
	v_addc_co_u32_e32 v100, vcc, 0, v103, vcc
	global_load_dwordx4 v[115:118], v[101:102], off offset:48
	global_load_dwordx4 v[119:122], v[99:100], off offset:1504
	;; [unrolled: 1-line block ×4, first 2 shown]
	v_add_u32_e32 v101, 0x1800, v113
	v_add_u32_e32 v159, 0x3000, v113
	;; [unrolled: 1-line block ×6, first 2 shown]
	ds_read2_b64 v[131:134], v101 offset0:192 offset1:252
	ds_read2_b64 v[135:138], v159 offset0:144 offset1:204
	;; [unrolled: 1-line block ×6, first 2 shown]
	v_add_co_u32_e32 v102, vcc, s8, v84
	v_mov_b32_e32 v106, 0xfffffda8
	v_mad_u32_u24 v106, v112, 5, v106
	v_addc_co_u32_e32 v103, vcc, 0, v98, vcc
	v_add_u32_e32 v161, 0x3800, v113
	s_movk_i32 s10, 0x2000
	s_movk_i32 s1, 0x3000
	s_waitcnt vmcnt(9) lgkmcnt(1)
	v_mul_f64 v[155:156], v[54:55], v[149:150]
	v_mul_f64 v[149:150], v[52:53], v[149:150]
	s_waitcnt vmcnt(7)
	v_mul_f64 v[109:110], v[62:63], v[145:146]
	s_waitcnt vmcnt(6)
	v_mul_f64 v[99:100], v[87:88], v[133:134]
	v_mul_f64 v[104:105], v[85:86], v[133:134]
	;; [unrolled: 1-line block ×5, first 2 shown]
	v_fma_f64 v[52:53], v[26:27], v[52:53], -v[155:156]
	v_fma_f64 v[26:27], v[26:27], v[54:55], v[149:150]
	v_fma_f64 v[60:61], v[30:31], v[60:61], -v[109:110]
	v_fma_f64 v[84:85], v[46:47], v[85:86], -v[99:100]
	v_fma_f64 v[46:47], v[46:47], v[87:88], v[104:105]
	v_fma_f64 v[30:31], v[30:31], v[62:63], v[133:134]
	v_fma_f64 v[56:57], v[38:39], v[56:57], -v[145:146]
	v_fma_f64 v[38:39], v[38:39], v[58:59], v[137:138]
	s_waitcnt vmcnt(5) lgkmcnt(0)
	v_mul_f64 v[157:158], v[91:92], v[153:154]
	v_mul_f64 v[153:154], v[89:90], v[153:154]
	s_waitcnt vmcnt(4)
	v_mul_f64 v[164:165], v[95:96], v[131:132]
	v_add_f64 v[86:87], v[50:51], v[84:85]
	v_mul_f64 v[131:132], v[93:94], v[131:132]
	s_waitcnt vmcnt(2)
	v_mul_f64 v[168:169], v[121:122], v[147:148]
	s_waitcnt vmcnt(1)
	v_mul_f64 v[170:171], v[125:126], v[143:144]
	v_mul_f64 v[143:144], v[123:124], v[143:144]
	;; [unrolled: 1-line block ×3, first 2 shown]
	v_fma_f64 v[58:59], v[34:35], v[89:90], -v[157:158]
	v_fma_f64 v[34:35], v[34:35], v[91:92], v[153:154]
	s_waitcnt vmcnt(0)
	v_mul_f64 v[172:173], v[129:130], v[151:152]
	v_mul_f64 v[151:152], v[127:128], v[151:152]
	v_fma_f64 v[99:100], v[24:25], v[119:120], -v[168:169]
	v_fma_f64 v[104:105], v[28:29], v[123:124], -v[170:171]
	v_fma_f64 v[54:55], v[28:29], v[125:126], v[143:144]
	v_fma_f64 v[125:126], v[24:25], v[121:122], v[147:148]
	v_add_f64 v[28:29], v[60:61], v[58:59]
	v_add_f64 v[24:25], v[30:31], v[34:35]
	v_fma_f64 v[110:111], v[32:33], v[127:128], -v[172:173]
	v_fma_f64 v[62:63], v[32:33], v[129:130], v[151:152]
	v_add_f64 v[32:33], v[46:47], v[141:142]
	v_add_f64 v[121:122], v[60:61], -v[58:59]
	v_add_f64 v[90:91], v[46:47], v[38:39]
	v_add_f64 v[119:120], v[30:31], -v[34:35]
	v_fma_f64 v[28:29], v[28:29], -0.5, v[52:53]
	v_fma_f64 v[24:25], v[24:25], -0.5, v[26:27]
	v_add_f64 v[26:27], v[26:27], v[30:31]
	v_add_f64 v[30:31], v[84:85], v[56:57]
	v_add_f64 v[52:53], v[52:53], v[60:61]
	v_add_f64 v[60:61], v[38:39], v[32:33]
	v_add_f64 v[88:89], v[84:85], -v[56:57]
	v_add_f64 v[46:47], v[46:47], -v[38:39]
	v_fma_f64 v[38:39], v[119:120], s[4:5], v[28:29]
	v_fma_f64 v[32:33], v[121:122], s[4:5], v[24:25]
	v_fma_f64 v[28:29], v[119:120], s[6:7], v[28:29]
	v_fma_f64 v[24:25], v[121:122], s[6:7], v[24:25]
	v_fma_f64 v[84:85], v[90:91], -0.5, v[141:142]
	v_add_f64 v[127:128], v[26:27], v[34:35]
	v_fma_f64 v[26:27], v[30:31], -0.5, v[50:51]
	v_add_f64 v[56:57], v[86:87], v[56:57]
	v_add_f64 v[52:53], v[52:53], v[58:59]
	v_mul_f64 v[30:31], v[32:33], -0.5
	v_mul_f64 v[34:35], v[38:39], s[6:7]
	v_mul_f64 v[58:59], v[24:25], s[4:5]
	v_fma_f64 v[86:87], v[88:89], s[4:5], v[84:85]
	v_fma_f64 v[129:130], v[88:89], s[6:7], v[84:85]
	;; [unrolled: 1-line block ×4, first 2 shown]
	v_mul_f64 v[166:167], v[115:116], v[135:136]
	v_fma_f64 v[46:47], v[28:29], s[6:7], v[30:31]
	v_mul_f64 v[50:51], v[28:29], -0.5
	v_fma_f64 v[58:59], v[38:39], 0.5, v[58:59]
	v_add_f64 v[121:122], v[54:55], v[62:63]
	v_mul_f64 v[123:124], v[117:118], v[135:136]
	v_fma_f64 v[96:97], v[44:45], v[95:96], v[131:132]
	v_fma_f64 v[141:142], v[24:25], 0.5, v[34:35]
	v_fma_f64 v[131:132], v[36:37], v[117:118], v[166:167]
	v_add_f64 v[26:27], v[86:87], -v[46:47]
	v_add_f64 v[38:39], v[86:87], v[46:47]
	v_lshlrev_b64 v[46:47], 4, v[106:107]
	v_fma_f64 v[143:144], v[32:33], s[4:5], v[50:51]
	v_add_co_u32_e32 v88, vcc, s8, v46
	v_addc_co_u32_e32 v89, vcc, v98, v47, vcc
	v_add_co_u32_e32 v46, vcc, s9, v88
	v_addc_co_u32_e32 v47, vcc, 0, v89, vcc
	;; [unrolled: 2-line block ×3, first 2 shown]
	global_load_dwordx4 v[84:87], v[46:47], off offset:32
	global_load_dwordx4 v[88:91], v[119:120], off offset:1568
	v_add_f64 v[50:51], v[104:105], v[110:111]
	global_load_dwordx4 v[117:120], v[119:120], off offset:1504
	v_fma_f64 v[135:136], v[44:45], v[93:94], -v[164:165]
	v_add_f64 v[44:45], v[104:105], -v[110:111]
	v_fma_f64 v[145:146], v[121:122], -0.5, v[125:126]
	v_fma_f64 v[115:116], v[36:37], v[115:116], -v[123:124]
	v_add_f64 v[151:152], v[96:97], v[131:132]
	v_add_f64 v[149:150], v[54:55], -v[62:63]
	v_fma_f64 v[147:148], v[50:51], -0.5, v[99:100]
	global_load_dwordx4 v[92:95], v[46:47], off offset:16
	global_load_dwordx4 v[121:124], v[46:47], off offset:48
	v_add_f64 v[34:35], v[60:61], -v[127:128]
	v_add_f64 v[30:31], v[129:130], -v[141:142]
	v_add_f64 v[46:47], v[129:130], v[141:142]
	v_fma_f64 v[129:130], v[44:45], s[4:5], v[145:146]
	v_add_f64 v[50:51], v[60:61], v[127:128]
	v_add_f64 v[127:128], v[135:136], -v[115:116]
	v_fma_f64 v[141:142], v[151:152], -0.5, v[139:140]
	v_fma_f64 v[145:146], v[44:45], s[6:7], v[145:146]
	v_add_f64 v[24:25], v[133:134], -v[143:144]
	v_add_f64 v[36:37], v[133:134], v[143:144]
	v_add_f64 v[133:134], v[135:136], v[115:116]
	v_fma_f64 v[143:144], v[149:150], s[6:7], v[147:148]
	v_fma_f64 v[60:61], v[149:150], s[4:5], v[147:148]
	v_add_f64 v[54:55], v[125:126], v[54:55]
	v_fma_f64 v[157:158], v[127:128], s[4:5], v[141:142]
	v_fma_f64 v[174:175], v[127:128], s[6:7], v[141:142]
	v_mul_f64 v[127:128], v[145:146], s[4:5]
	v_mul_f64 v[147:148], v[129:130], -0.5
	v_fma_f64 v[125:126], v[133:134], -0.5, v[48:49]
	v_mul_f64 v[133:134], v[143:144], -0.5
	v_mul_f64 v[44:45], v[60:61], s[6:7]
	v_add_f64 v[139:140], v[96:97], v[139:140]
	v_add_f64 v[96:97], v[96:97], -v[131:132]
	v_add_f64 v[32:33], v[56:57], -v[52:53]
	v_fma_f64 v[186:187], v[60:61], 0.5, v[127:128]
	v_mov_b32_e32 v60, 0xfffffc7c
	v_mad_u32_u24 v106, v112, 5, v60
	v_fma_f64 v[184:185], v[129:130], s[4:5], v[133:134]
	v_add_f64 v[129:130], v[48:49], v[135:136]
	v_lshlrev_b64 v[60:61], 4, v[106:107]
	v_add_f64 v[48:49], v[56:57], v[52:53]
	v_add_f64 v[56:57], v[99:100], v[104:105]
	v_add_co_u32_e32 v99, vcc, s8, v60
	v_addc_co_u32_e32 v100, vcc, v98, v61, vcc
	v_add_co_u32_e32 v60, vcc, s9, v99
	v_addc_co_u32_e32 v61, vcc, 0, v100, vcc
	v_add_co_u32_e32 v99, vcc, s0, v99
	v_add_f64 v[178:179], v[131:132], v[139:140]
	v_fma_f64 v[182:183], v[96:97], s[6:7], v[125:126]
	v_fma_f64 v[96:97], v[96:97], s[4:5], v[125:126]
	v_add_f64 v[188:189], v[129:130], v[115:116]
	global_load_dwordx4 v[125:128], v[60:61], off offset:48
	global_load_dwordx4 v[129:132], v[60:61], off offset:32
	v_addc_co_u32_e32 v100, vcc, 0, v100, vcc
	v_add_f64 v[28:29], v[137:138], -v[58:59]
	v_fma_f64 v[172:173], v[143:144], s[6:7], v[147:148]
	v_fma_f64 v[176:177], v[145:146], 0.5, v[44:45]
	v_add_f64 v[44:45], v[137:138], v[58:59]
	global_load_dwordx4 v[133:136], v[99:100], off offset:1504
	global_load_dwordx4 v[137:140], v[99:100], off offset:1568
	;; [unrolled: 1-line block ×3, first 2 shown]
	v_add_u32_e32 v109, 0x2000, v113
	ds_read2_b64 v[145:148], v109 offset0:176 offset1:236
	ds_read2_b64 v[149:152], v161 offset0:128 offset1:188
	v_add_u32_e32 v104, 0xc00, v113
	v_add_f64 v[99:100], v[56:57], v[110:111]
	ds_read2_b64 v[153:156], v104 offset0:96 offset1:156
	ds_read2_b64 v[164:167], v101 offset0:72 offset1:132
	ds_read2_b64 v[168:171], v159 offset0:24 offset1:84
	v_add_f64 v[180:181], v[54:55], v[62:63]
	v_add_f64 v[54:55], v[157:158], -v[172:173]
	v_add_f64 v[58:59], v[174:175], -v[176:177]
	v_mov_b32_e32 v101, 0xfffffb50
	v_mad_u32_u24 v106, v112, 5, v101
	v_add_f64 v[52:53], v[182:183], -v[184:185]
	s_waitcnt vmcnt(9) lgkmcnt(4)
	v_mul_f64 v[56:57], v[86:87], v[147:148]
	v_mul_f64 v[60:61], v[84:85], v[147:148]
	s_waitcnt vmcnt(8) lgkmcnt(3)
	v_mul_f64 v[104:105], v[88:89], v[151:152]
	v_mul_f64 v[110:111], v[90:91], v[151:152]
	s_waitcnt vmcnt(7) lgkmcnt(2)
	v_mul_f64 v[115:116], v[119:120], v[155:156]
	v_add_f64 v[62:63], v[178:179], -v[180:181]
	v_fma_f64 v[147:148], v[82:83], v[84:85], -v[56:57]
	v_fma_f64 v[86:87], v[82:83], v[86:87], v[60:61]
	v_mul_f64 v[82:83], v[117:118], v[155:156]
	v_fma_f64 v[90:91], v[78:79], v[90:91], v[104:105]
	v_fma_f64 v[78:79], v[78:79], v[88:89], -v[110:111]
	s_waitcnt vmcnt(6) lgkmcnt(1)
	v_mul_f64 v[88:89], v[92:93], v[166:167]
	s_waitcnt vmcnt(5) lgkmcnt(0)
	v_mul_f64 v[104:105], v[121:122], v[170:171]
	v_fma_f64 v[110:111], v[74:75], v[117:118], -v[115:116]
	v_mul_f64 v[117:118], v[94:95], v[166:167]
	v_add_f64 v[84:85], v[157:158], v[172:173]
	v_fma_f64 v[74:75], v[74:75], v[119:120], v[82:83]
	v_add_f64 v[82:83], v[86:87], v[90:91]
	v_mul_f64 v[119:120], v[123:124], v[170:171]
	v_add_f64 v[115:116], v[147:148], v[78:79]
	v_fma_f64 v[94:95], v[66:67], v[94:95], v[88:89]
	v_fma_f64 v[104:105], v[70:71], v[123:124], v[104:105]
	v_add_f64 v[123:124], v[147:148], -v[78:79]
	v_fma_f64 v[166:167], v[66:67], v[92:93], -v[117:118]
	v_add_f64 v[157:158], v[86:87], -v[90:91]
	v_fma_f64 v[151:152], v[82:83], -0.5, v[74:75]
	v_fma_f64 v[170:171], v[70:71], v[121:122], -v[119:120]
	v_fma_f64 v[155:156], v[115:116], -0.5, v[110:111]
	v_add_f64 v[74:75], v[74:75], v[86:87]
	v_add_f64 v[66:67], v[94:95], v[104:105]
	ds_read2_b64 v[115:118], v113 offset0:120 offset1:180
	v_add_f64 v[88:89], v[174:175], v[176:177]
	v_add_f64 v[92:93], v[178:179], v[180:181]
	v_fma_f64 v[70:71], v[123:124], s[4:5], v[151:152]
	v_add_f64 v[172:173], v[166:167], v[170:171]
	v_fma_f64 v[123:124], v[123:124], s[6:7], v[151:152]
	v_fma_f64 v[119:120], v[157:158], s[4:5], v[155:156]
	s_waitcnt lgkmcnt(0)
	v_fma_f64 v[66:67], v[66:67], -0.5, v[117:118]
	v_add_f64 v[117:118], v[94:95], v[117:118]
	v_add_f64 v[174:175], v[94:95], -v[104:105]
	v_add_f64 v[178:179], v[74:75], v[90:91]
	v_add_f64 v[60:61], v[188:189], -v[99:100]
	v_fma_f64 v[172:173], v[172:173], -0.5, v[42:43]
	v_mul_f64 v[74:75], v[123:124], s[4:5]
	v_add_f64 v[90:91], v[188:189], v[99:100]
	v_add_f64 v[99:100], v[110:111], v[147:148]
	;; [unrolled: 1-line block ×4, first 2 shown]
	v_add_f64 v[121:122], v[166:167], -v[170:171]
	v_fma_f64 v[155:156], v[157:158], s[6:7], v[155:156]
	v_fma_f64 v[180:181], v[174:175], s[6:7], v[172:173]
	;; [unrolled: 1-line block ×3, first 2 shown]
	v_fma_f64 v[174:175], v[119:120], 0.5, v[74:75]
	v_mul_f64 v[157:158], v[70:71], -0.5
	v_mul_f64 v[151:152], v[119:120], s[6:7]
	v_add_f64 v[42:43], v[42:43], v[166:167]
	s_waitcnt vmcnt(3)
	v_mul_f64 v[74:75], v[131:132], v[145:146]
	v_mul_f64 v[110:111], v[129:130], v[145:146]
	v_mul_f64 v[86:87], v[155:156], -0.5
	v_fma_f64 v[176:177], v[121:122], s[4:5], v[66:67]
	v_add_f64 v[56:57], v[96:97], -v[186:187]
	v_fma_f64 v[155:156], v[155:156], s[6:7], v[157:158]
	s_waitcnt vmcnt(1)
	v_mul_f64 v[117:118], v[137:138], v[149:150]
	v_fma_f64 v[157:158], v[121:122], s[6:7], v[66:67]
	v_fma_f64 v[184:185], v[80:81], v[129:130], -v[74:75]
	v_fma_f64 v[80:81], v[80:81], v[131:132], v[110:111]
	v_mul_f64 v[74:75], v[139:140], v[149:150]
	v_fma_f64 v[151:152], v[123:124], 0.5, v[151:152]
	v_mul_f64 v[129:130], v[133:134], v[153:154]
	v_mul_f64 v[166:167], v[135:136], v[153:154]
	v_fma_f64 v[110:111], v[76:77], v[139:140], v[117:118]
	v_lshlrev_b64 v[117:118], 4, v[106:107]
	v_fma_f64 v[182:183], v[70:71], s[4:5], v[86:87]
	v_add_co_u32_e32 v101, vcc, s8, v117
	v_addc_co_u32_e32 v98, vcc, v98, v118, vcc
	v_add_co_u32_e32 v139, vcc, s9, v101
	v_addc_co_u32_e32 v140, vcc, 0, v98, vcc
	;; [unrolled: 2-line block ×3, first 2 shown]
	global_load_dwordx4 v[117:120], v[139:140], off offset:32
	global_load_dwordx4 v[121:124], v[131:132], off offset:1568
	v_fma_f64 v[149:150], v[72:73], v[135:136], v[129:130]
	global_load_dwordx4 v[129:132], v[131:132], off offset:1504
	v_add_f64 v[86:87], v[96:97], v[186:187]
	v_fma_f64 v[186:187], v[76:77], v[137:138], -v[74:75]
	s_waitcnt vmcnt(3)
	v_mul_f64 v[147:148], v[141:142], v[164:165]
	v_add_f64 v[74:75], v[80:81], v[110:111]
	v_fma_f64 v[188:189], v[72:73], v[133:134], -v[166:167]
	global_load_dwordx4 v[133:136], v[139:140], off offset:16
	s_nop 0
	global_load_dwordx4 v[137:140], v[139:140], off offset:48
	v_mul_f64 v[76:77], v[127:128], v[168:169]
	v_mul_f64 v[145:146], v[143:144], v[164:165]
	;; [unrolled: 1-line block ×3, first 2 shown]
	v_add_f64 v[72:73], v[184:185], v[186:187]
	v_fma_f64 v[143:144], v[64:65], v[143:144], v[147:148]
	v_add_f64 v[147:148], v[184:185], -v[186:187]
	v_fma_f64 v[153:154], v[74:75], -0.5, v[149:150]
	v_add_f64 v[42:43], v[42:43], v[170:171]
	v_fma_f64 v[190:191], v[68:69], v[125:126], -v[76:77]
	v_add_f64 v[125:126], v[80:81], -v[110:111]
	v_fma_f64 v[127:128], v[68:69], v[127:128], v[164:165]
	v_fma_f64 v[72:73], v[72:73], -0.5, v[188:189]
	v_add_f64 v[98:99], v[99:100], v[78:79]
	v_fma_f64 v[164:165], v[64:65], v[141:142], -v[145:146]
	v_fma_f64 v[141:142], v[147:148], s[4:5], v[153:154]
	v_add_f64 v[96:97], v[176:177], -v[155:156]
	v_add_f64 v[74:75], v[176:177], v[155:156]
	v_add_f64 v[66:67], v[157:158], -v[151:152]
	v_add_f64 v[70:71], v[104:105], -v[178:179]
	v_fma_f64 v[155:156], v[125:126], s[6:7], v[72:73]
	v_fma_f64 v[125:126], v[125:126], s[4:5], v[72:73]
	v_add_f64 v[76:77], v[143:144], v[127:128]
	v_add_f64 v[68:69], v[42:43], -v[98:99]
	v_add_f64 v[78:79], v[157:158], v[151:152]
	v_mul_f64 v[157:158], v[141:142], -0.5
	v_add_f64 v[100:101], v[104:105], v[178:179]
	v_add_f64 v[104:105], v[164:165], v[190:191]
	;; [unrolled: 1-line block ×3, first 2 shown]
	v_fma_f64 v[42:43], v[147:148], s[6:7], v[153:154]
	v_add_f64 v[80:81], v[149:150], v[80:81]
	v_mul_f64 v[147:148], v[125:126], s[6:7]
	v_add_f64 v[145:146], v[164:165], -v[190:191]
	v_fma_f64 v[151:152], v[76:77], -0.5, v[115:116]
	v_fma_f64 v[157:158], v[155:156], s[6:7], v[157:158]
	v_add_f64 v[115:116], v[143:144], v[115:116]
	v_fma_f64 v[149:150], v[104:105], -0.5, v[40:41]
	v_add_f64 v[143:144], v[143:144], -v[127:128]
	v_mul_f64 v[153:154], v[155:156], -0.5
	v_mul_f64 v[155:156], v[42:43], s[4:5]
	v_add_f64 v[80:81], v[80:81], v[110:111]
	v_add_co_u32_e32 v110, vcc, s9, v102
	v_addc_co_u32_e32 v111, vcc, 0, v103, vcc
	v_fma_f64 v[196:197], v[42:43], 0.5, v[147:148]
	v_add_co_u32_e32 v42, vcc, s0, v102
	v_fma_f64 v[192:193], v[145:146], s[4:5], v[151:152]
	v_fma_f64 v[194:195], v[145:146], s[6:7], v[151:152]
	v_add_f64 v[115:116], v[127:128], v[115:116]
	v_fma_f64 v[198:199], v[143:144], s[6:7], v[149:150]
	v_fma_f64 v[200:201], v[141:142], s[4:5], v[153:154]
	;; [unrolled: 1-line block ×3, first 2 shown]
	v_fma_f64 v[204:205], v[125:126], 0.5, v[155:156]
	v_addc_co_u32_e32 v43, vcc, 0, v103, vcc
	global_load_dwordx4 v[125:128], v[110:111], off offset:48
	global_load_dwordx4 v[141:144], v[110:111], off offset:32
	global_load_dwordx4 v[145:148], v[42:43], off offset:1504
	global_load_dwordx4 v[149:152], v[42:43], off offset:1568
	v_add_f64 v[64:65], v[172:173], -v[174:175]
	v_add_f64 v[76:77], v[172:173], v[174:175]
	global_load_dwordx4 v[172:175], v[110:111], off offset:16
	v_add_f64 v[40:41], v[40:41], v[164:165]
	ds_read2_b64 v[164:167], v109 offset0:56 offset1:116
	ds_read2_b64 v[168:171], v161 offset0:8 offset1:68
	v_add_u32_e32 v109, 0x800, v113
	ds_read2_b64 v[176:179], v109 offset0:104 offset1:164
	v_add_u32_e32 v106, 0x1400, v113
	v_add_f64 v[94:95], v[180:181], -v[182:183]
	v_add_f64 v[72:73], v[180:181], v[182:183]
	ds_read2_b64 v[180:183], v106 offset0:80 offset1:140
	ds_read2_b64 v[108:111], v108 offset0:160 offset1:220
	v_add_f64 v[104:105], v[192:193], -v[157:158]
	s_waitcnt vmcnt(9) lgkmcnt(4)
	v_mul_f64 v[206:207], v[119:120], v[166:167]
	v_mul_f64 v[166:167], v[117:118], v[166:167]
	s_waitcnt vmcnt(8) lgkmcnt(3)
	v_mul_f64 v[208:209], v[121:122], v[170:171]
	v_mul_f64 v[170:171], v[123:124], v[170:171]
	s_waitcnt vmcnt(7) lgkmcnt(2)
	v_mul_f64 v[210:211], v[131:132], v[178:179]
	v_add_f64 v[42:43], v[115:116], -v[80:81]
	v_mov_b32_e32 v161, v107
	v_add_f64 v[155:156], v[194:195], -v[196:197]
	v_fma_f64 v[206:207], v[18:19], v[117:118], -v[206:207]
	v_fma_f64 v[18:19], v[18:19], v[119:120], v[166:167]
	v_mul_f64 v[117:118], v[129:130], v[178:179]
	v_fma_f64 v[166:167], v[22:23], v[123:124], v[208:209]
	v_fma_f64 v[22:23], v[22:23], v[121:122], -v[170:171]
	v_add_f64 v[119:120], v[188:189], v[184:185]
	v_add_f64 v[170:171], v[40:41], v[190:191]
	s_waitcnt vmcnt(6) lgkmcnt(1)
	v_mul_f64 v[40:41], v[133:134], v[182:183]
	s_waitcnt vmcnt(5) lgkmcnt(0)
	v_mul_f64 v[121:122], v[137:138], v[110:111]
	v_fma_f64 v[178:179], v[14:15], v[129:130], -v[210:211]
	v_fma_f64 v[14:15], v[14:15], v[131:132], v[117:118]
	v_add_f64 v[117:118], v[18:19], v[166:167]
	v_add_f64 v[123:124], v[206:207], v[22:23]
	;; [unrolled: 1-line block ×3, first 2 shown]
	v_mul_f64 v[119:120], v[135:136], v[182:183]
	v_mul_f64 v[110:111], v[139:140], v[110:111]
	v_fma_f64 v[135:136], v[6:7], v[135:136], v[40:41]
	v_fma_f64 v[139:140], v[10:11], v[139:140], v[121:122]
	v_add_f64 v[182:183], v[206:207], -v[22:23]
	v_fma_f64 v[184:185], v[117:118], -0.5, v[14:15]
	v_fma_f64 v[186:187], v[123:124], -0.5, v[178:179]
	v_add_f64 v[188:189], v[18:19], -v[166:167]
	v_fma_f64 v[133:134], v[6:7], v[133:134], -v[119:120]
	v_fma_f64 v[110:111], v[10:11], v[137:138], -v[110:111]
	ds_read2_b64 v[119:122], v113 offset1:60
	v_add_f64 v[6:7], v[135:136], v[139:140]
	v_add_f64 v[117:118], v[192:193], v[157:158]
	v_fma_f64 v[137:138], v[182:183], s[4:5], v[184:185]
	v_add_f64 v[131:132], v[115:116], v[80:81]
	v_fma_f64 v[157:158], v[188:189], s[4:5], v[186:187]
	v_fma_f64 v[80:81], v[188:189], s[6:7], v[186:187]
	;; [unrolled: 1-line block ×3, first 2 shown]
	v_add_f64 v[14:15], v[14:15], v[18:19]
	s_waitcnt lgkmcnt(0)
	v_fma_f64 v[6:7], v[6:7], -0.5, v[121:122]
	v_add_f64 v[121:122], v[135:136], v[121:122]
	v_mul_f64 v[186:187], v[137:138], -0.5
	v_add_f64 v[18:19], v[133:134], v[110:111]
	v_add_f64 v[135:136], v[135:136], -v[139:140]
	v_add_f64 v[40:41], v[170:171], -v[129:130]
	v_mul_f64 v[184:185], v[157:158], s[6:7]
	v_add_f64 v[129:130], v[170:171], v[129:130]
	v_add_f64 v[10:11], v[133:134], -v[110:111]
	v_add_f64 v[192:193], v[139:140], v[121:122]
	v_fma_f64 v[186:187], v[80:81], s[6:7], v[186:187]
	v_fma_f64 v[18:19], v[18:19], -0.5, v[2:3]
	v_mul_f64 v[80:81], v[80:81], -0.5
	v_mul_f64 v[139:140], v[182:183], s[4:5]
	v_add_f64 v[2:3], v[2:3], v[133:134]
	v_add_f64 v[133:134], v[178:179], v[206:207]
	v_add_f64 v[166:167], v[14:15], v[166:167]
	v_add_co_u32_e32 v113, vcc, s2, v162
	v_fma_f64 v[170:171], v[135:136], s[6:7], v[18:19]
	v_fma_f64 v[80:81], v[137:138], s[4:5], v[80:81]
	v_fma_f64 v[135:136], v[135:136], s[4:5], v[18:19]
	v_fma_f64 v[139:140], v[157:158], 0.5, v[139:140]
	s_waitcnt vmcnt(3)
	v_mul_f64 v[137:138], v[141:142], v[164:165]
	v_mul_f64 v[157:158], v[143:144], v[164:165]
	s_waitcnt vmcnt(1)
	v_mul_f64 v[18:19], v[149:150], v[168:169]
	v_mul_f64 v[164:165], v[151:152], v[168:169]
	;; [unrolled: 1-line block ×4, first 2 shown]
	v_add_f64 v[133:134], v[133:134], v[22:23]
	v_add_f64 v[110:111], v[2:3], v[110:111]
	v_fma_f64 v[137:138], v[16:17], v[143:144], v[137:138]
	v_mul_f64 v[143:144], v[145:146], v[176:177]
	v_fma_f64 v[151:152], v[20:21], v[151:152], v[18:19]
	v_mul_f64 v[176:177], v[147:148], v[176:177]
	v_fma_f64 v[141:142], v[16:17], v[141:142], -v[157:158]
	v_fma_f64 v[20:21], v[20:21], v[149:150], -v[164:165]
	s_waitcnt vmcnt(0)
	v_mul_f64 v[16:17], v[174:175], v[180:181]
	v_mul_f64 v[18:19], v[172:173], v[180:181]
	v_fma_f64 v[127:128], v[8:9], v[127:128], v[168:169]
	v_fma_f64 v[143:144], v[12:13], v[147:148], v[143:144]
	v_add_f64 v[147:148], v[137:138], v[151:152]
	v_fma_f64 v[145:146], v[12:13], v[145:146], -v[176:177]
	v_add_f64 v[22:23], v[137:138], -v[151:152]
	v_add_f64 v[12:13], v[141:142], v[20:21]
	v_fma_f64 v[164:165], v[4:5], v[172:173], -v[16:17]
	v_fma_f64 v[149:150], v[4:5], v[174:175], v[18:19]
	v_add_f64 v[157:158], v[141:142], -v[20:21]
	v_fma_f64 v[108:109], v[8:9], v[125:126], -v[108:109]
	v_fma_f64 v[147:148], v[147:148], -0.5, v[143:144]
	v_add_f64 v[4:5], v[170:171], -v[80:81]
	v_add_f64 v[137:138], v[143:144], v[137:138]
	v_fma_f64 v[16:17], v[12:13], -0.5, v[145:146]
	v_add_f64 v[141:142], v[145:146], v[141:142]
	v_add_f64 v[2:3], v[149:150], v[127:128]
	v_add_f64 v[143:144], v[149:150], -v[127:128]
	v_add_f64 v[168:169], v[164:165], -v[108:109]
	v_fma_f64 v[125:126], v[157:158], s[4:5], v[147:148]
	v_fma_f64 v[147:148], v[157:158], s[6:7], v[147:148]
	v_add_f64 v[14:15], v[192:193], -v[166:167]
	v_fma_f64 v[176:177], v[22:23], s[4:5], v[16:17]
	v_fma_f64 v[174:175], v[22:23], s[6:7], v[16:17]
	v_add_f64 v[16:17], v[170:171], v[80:81]
	v_add_f64 v[80:81], v[164:165], v[108:109]
	v_fma_f64 v[172:173], v[2:3], -0.5, v[119:120]
	v_mul_f64 v[178:179], v[125:126], -0.5
	v_add_f64 v[119:120], v[149:150], v[119:120]
	v_add_f64 v[22:23], v[192:193], v[166:167]
	v_mul_f64 v[157:158], v[176:177], s[6:7]
	v_mul_f64 v[149:150], v[174:175], -0.5
	v_add_f64 v[137:138], v[137:138], v[151:152]
	v_fma_f64 v[80:81], v[80:81], -0.5, v[0:1]
	v_add_f64 v[0:1], v[0:1], v[164:165]
	v_fma_f64 v[166:167], v[168:169], s[4:5], v[172:173]
	v_fma_f64 v[168:169], v[168:169], s[6:7], v[172:173]
	;; [unrolled: 1-line block ×3, first 2 shown]
	v_fma_f64 v[157:158], v[147:148], 0.5, v[157:158]
	v_mul_f64 v[147:148], v[147:148], s[4:5]
	v_add_f64 v[119:120], v[127:128], v[119:120]
	v_fma_f64 v[145:146], v[143:144], s[6:7], v[80:81]
	v_fma_f64 v[80:81], v[143:144], s[4:5], v[80:81]
	v_fma_f64 v[149:150], v[125:126], s[4:5], v[149:150]
	v_add_f64 v[164:165], v[0:1], v[108:109]
	v_add_f64 v[172:173], v[141:142], v[20:21]
	;; [unrolled: 1-line block ×3, first 2 shown]
	v_fma_f64 v[151:152], v[176:177], 0.5, v[147:148]
	v_fma_f64 v[188:189], v[10:11], s[4:5], v[6:7]
	v_fma_f64 v[190:191], v[10:11], s[6:7], v[6:7]
	v_fma_f64 v[184:185], v[182:183], 0.5, v[184:185]
	v_add_f64 v[8:9], v[135:136], -v[139:140]
	v_add_f64 v[0:1], v[135:136], v[139:140]
	v_add_f64 v[135:136], v[119:120], -v[137:138]
	v_add_f64 v[108:109], v[145:146], -v[149:150]
	v_add_f64 v[141:142], v[80:81], v[151:152]
	v_add_f64 v[125:126], v[80:81], -v[151:152]
	v_mov_b32_e32 v80, s3
	v_add_f64 v[139:140], v[166:167], v[170:171]
	v_add_f64 v[147:148], v[119:120], v[137:138]
	;; [unrolled: 1-line block ×3, first 2 shown]
	v_addc_co_u32_e32 v149, vcc, v80, v163, vcc
	v_lshlrev_b64 v[80:81], 4, v[160:161]
	v_add_f64 v[12:13], v[110:111], -v[133:134]
	v_add_f64 v[20:21], v[110:111], v[133:134]
	v_add_f64 v[133:134], v[164:165], -v[172:173]
	v_add_co_u32_e32 v80, vcc, v113, v80
	v_addc_co_u32_e32 v81, vcc, v149, v81, vcc
	v_add_f64 v[127:128], v[168:169], -v[157:158]
	v_add_co_u32_e32 v119, vcc, s0, v80
	v_addc_co_u32_e32 v120, vcc, 0, v81, vcc
	v_add_f64 v[110:111], v[166:167], -v[170:171]
	v_add_f64 v[145:146], v[164:165], v[172:173]
	global_store_dwordx4 v[119:120], v[141:144], off offset:1664
	s_movk_i32 s2, 0x4000
	v_add_co_u32_e32 v141, vcc, s10, v80
	v_addc_co_u32_e32 v142, vcc, 0, v81, vcc
	v_add_f64 v[18:19], v[188:189], v[186:187]
	v_add_f64 v[2:3], v[190:191], v[184:185]
	global_store_dwordx4 v[141:142], v[137:140], off offset:3328
	s_movk_i32 s3, 0x5000
	v_add_co_u32_e32 v137, vcc, s2, v80
	v_addc_co_u32_e32 v138, vcc, 0, v81, vcc
	v_add_f64 v[10:11], v[190:191], -v[184:185]
	global_store_dwordx4 v[137:138], v[133:136], off offset:896
	v_add_f64 v[6:7], v[188:189], -v[186:187]
	v_add_co_u32_e32 v133, vcc, s3, v80
	v_addc_co_u32_e32 v134, vcc, 0, v81, vcc
	s_movk_i32 s4, 0x7000
	v_add_f64 v[102:103], v[198:199], -v[200:201]
	v_add_f64 v[153:154], v[202:203], -v[204:205]
	global_store_dwordx4 v[133:134], v[125:128], off offset:2560
	v_add_f64 v[123:124], v[194:195], v[196:197]
	v_add_co_u32_e32 v125, vcc, s4, v80
	v_add_f64 v[121:122], v[202:203], v[204:205]
	v_addc_co_u32_e32 v126, vcc, 0, v81, vcc
	v_add_f64 v[115:116], v[198:199], v[200:201]
	global_store_dwordx4 v[80:81], v[145:148], off
	global_store_dwordx4 v[125:126], v[108:111], off offset:128
	global_store_dwordx4 v[80:81], v[20:23], off offset:960
	global_store_dwordx4 v[119:120], v[0:3], off offset:2624
	s_movk_i32 s5, 0x6000
	v_add_co_u32_e32 v0, vcc, s1, v80
	v_addc_co_u32_e32 v1, vcc, 0, v81, vcc
	v_or_b32_e32 v106, 0x780, v160
	global_store_dwordx4 v[0:1], v[16:19], off offset:192
	global_store_dwordx4 v[137:138], v[12:15], off offset:1856
	;; [unrolled: 1-line block ×8, first 2 shown]
	v_add_co_u32_e32 v2, vcc, s5, v80
	v_lshlrev_b64 v[4:5], 4, v[106:107]
	v_addc_co_u32_e32 v3, vcc, 0, v81, vcc
	v_add_co_u32_e32 v4, vcc, v113, v4
	v_addc_co_u32_e32 v5, vcc, v149, v5, vcc
	global_store_dwordx4 v[2:3], v[153:156], off offset:384
	global_store_dwordx4 v[4:5], v[102:105], off
	global_store_dwordx4 v[80:81], v[98:101], off offset:2880
	global_store_dwordx4 v[141:142], v[76:79], off offset:448
	;; [unrolled: 1-line block ×3, first 2 shown]
	v_lshrrev_b32_e32 v0, 3, v114
	s_mov_b32 s6, 0x16c16c17
	v_mul_hi_u32 v0, v0, s6
	global_store_dwordx4 v[137:138], v[68:71], off offset:3776
	global_store_dwordx4 v[2:3], v[64:67], off offset:1344
	;; [unrolled: 1-line block ×3, first 2 shown]
	s_movk_i32 s7, 0x708
	v_lshrrev_b32_e32 v0, 2, v0
	v_mul_u32_u24_e32 v106, 0x708, v0
	v_lshlrev_b64 v[0:1], 4, v[106:107]
	v_add_co_u32_e32 v0, vcc, v80, v0
	v_addc_co_u32_e32 v1, vcc, v81, v1, vcc
	v_add_co_u32_e32 v2, vcc, s10, v0
	v_addc_co_u32_e32 v3, vcc, 0, v1, vcc
	global_store_dwordx4 v[2:3], v[86:89], off offset:1408
	v_add_co_u32_e32 v2, vcc, s1, v0
	v_addc_co_u32_e32 v3, vcc, 0, v1, vcc
	global_store_dwordx4 v[2:3], v[82:85], off offset:3072
	;; [unrolled: 3-line block ×4, first 2 shown]
	v_lshrrev_b32_e32 v2, 3, v112
	v_mul_hi_u32 v2, v2, s6
	global_store_dwordx4 v[0:1], v[90:93], off offset:3840
	v_add_co_u32_e32 v0, vcc, s4, v0
	v_addc_co_u32_e32 v1, vcc, 0, v1, vcc
	global_store_dwordx4 v[0:1], v[52:55], off offset:3968
	v_lshrrev_b32_e32 v0, 2, v2
	v_mad_u32_u24 v106, v0, s7, v112
	v_lshlrev_b64 v[0:1], 4, v[106:107]
	v_add_co_u32_e32 v0, vcc, v113, v0
	v_addc_co_u32_e32 v1, vcc, v149, v1, vcc
	v_add_co_u32_e32 v2, vcc, s0, v0
	v_addc_co_u32_e32 v3, vcc, 0, v1, vcc
	global_store_dwordx4 v[2:3], v[44:47], off offset:1664
	v_add_co_u32_e32 v2, vcc, s10, v0
	v_addc_co_u32_e32 v3, vcc, 0, v1, vcc
	global_store_dwordx4 v[2:3], v[36:39], off offset:3328
	;; [unrolled: 3-line block ×3, first 2 shown]
	v_add_co_u32_e32 v2, vcc, 0x5000, v0
	v_addc_co_u32_e32 v3, vcc, 0, v1, vcc
	global_store_dwordx4 v[0:1], v[48:51], off
	v_add_co_u32_e32 v0, vcc, 0x7000, v0
	v_addc_co_u32_e32 v1, vcc, 0, v1, vcc
	global_store_dwordx4 v[2:3], v[28:31], off offset:2560
	global_store_dwordx4 v[0:1], v[24:27], off offset:128
.LBB0_19:
	s_endpgm
	.section	.rodata,"a",@progbits
	.p2align	6, 0x0
	.amdhsa_kernel fft_rtc_fwd_len2160_factors_10_6_6_6_wgs_60_tpt_60_halfLds_dp_ip_CI_unitstride_sbrr_dirReg
		.amdhsa_group_segment_fixed_size 0
		.amdhsa_private_segment_fixed_size 0
		.amdhsa_kernarg_size 88
		.amdhsa_user_sgpr_count 6
		.amdhsa_user_sgpr_private_segment_buffer 1
		.amdhsa_user_sgpr_dispatch_ptr 0
		.amdhsa_user_sgpr_queue_ptr 0
		.amdhsa_user_sgpr_kernarg_segment_ptr 1
		.amdhsa_user_sgpr_dispatch_id 0
		.amdhsa_user_sgpr_flat_scratch_init 0
		.amdhsa_user_sgpr_private_segment_size 0
		.amdhsa_uses_dynamic_stack 0
		.amdhsa_system_sgpr_private_segment_wavefront_offset 0
		.amdhsa_system_sgpr_workgroup_id_x 1
		.amdhsa_system_sgpr_workgroup_id_y 0
		.amdhsa_system_sgpr_workgroup_id_z 0
		.amdhsa_system_sgpr_workgroup_info 0
		.amdhsa_system_vgpr_workitem_id 0
		.amdhsa_next_free_vgpr 254
		.amdhsa_next_free_sgpr 22
		.amdhsa_reserve_vcc 1
		.amdhsa_reserve_flat_scratch 0
		.amdhsa_float_round_mode_32 0
		.amdhsa_float_round_mode_16_64 0
		.amdhsa_float_denorm_mode_32 3
		.amdhsa_float_denorm_mode_16_64 3
		.amdhsa_dx10_clamp 1
		.amdhsa_ieee_mode 1
		.amdhsa_fp16_overflow 0
		.amdhsa_exception_fp_ieee_invalid_op 0
		.amdhsa_exception_fp_denorm_src 0
		.amdhsa_exception_fp_ieee_div_zero 0
		.amdhsa_exception_fp_ieee_overflow 0
		.amdhsa_exception_fp_ieee_underflow 0
		.amdhsa_exception_fp_ieee_inexact 0
		.amdhsa_exception_int_div_zero 0
	.end_amdhsa_kernel
	.text
.Lfunc_end0:
	.size	fft_rtc_fwd_len2160_factors_10_6_6_6_wgs_60_tpt_60_halfLds_dp_ip_CI_unitstride_sbrr_dirReg, .Lfunc_end0-fft_rtc_fwd_len2160_factors_10_6_6_6_wgs_60_tpt_60_halfLds_dp_ip_CI_unitstride_sbrr_dirReg
                                        ; -- End function
	.section	.AMDGPU.csdata,"",@progbits
; Kernel info:
; codeLenInByte = 21048
; NumSgprs: 26
; NumVgprs: 254
; ScratchSize: 0
; MemoryBound: 1
; FloatMode: 240
; IeeeMode: 1
; LDSByteSize: 0 bytes/workgroup (compile time only)
; SGPRBlocks: 3
; VGPRBlocks: 63
; NumSGPRsForWavesPerEU: 26
; NumVGPRsForWavesPerEU: 254
; Occupancy: 1
; WaveLimiterHint : 1
; COMPUTE_PGM_RSRC2:SCRATCH_EN: 0
; COMPUTE_PGM_RSRC2:USER_SGPR: 6
; COMPUTE_PGM_RSRC2:TRAP_HANDLER: 0
; COMPUTE_PGM_RSRC2:TGID_X_EN: 1
; COMPUTE_PGM_RSRC2:TGID_Y_EN: 0
; COMPUTE_PGM_RSRC2:TGID_Z_EN: 0
; COMPUTE_PGM_RSRC2:TIDIG_COMP_CNT: 0
	.type	__hip_cuid_2e4b1c2d902f1a49,@object ; @__hip_cuid_2e4b1c2d902f1a49
	.section	.bss,"aw",@nobits
	.globl	__hip_cuid_2e4b1c2d902f1a49
__hip_cuid_2e4b1c2d902f1a49:
	.byte	0                               ; 0x0
	.size	__hip_cuid_2e4b1c2d902f1a49, 1

	.ident	"AMD clang version 19.0.0git (https://github.com/RadeonOpenCompute/llvm-project roc-6.4.0 25133 c7fe45cf4b819c5991fe208aaa96edf142730f1d)"
	.section	".note.GNU-stack","",@progbits
	.addrsig
	.addrsig_sym __hip_cuid_2e4b1c2d902f1a49
	.amdgpu_metadata
---
amdhsa.kernels:
  - .args:
      - .actual_access:  read_only
        .address_space:  global
        .offset:         0
        .size:           8
        .value_kind:     global_buffer
      - .offset:         8
        .size:           8
        .value_kind:     by_value
      - .actual_access:  read_only
        .address_space:  global
        .offset:         16
        .size:           8
        .value_kind:     global_buffer
      - .actual_access:  read_only
        .address_space:  global
        .offset:         24
        .size:           8
        .value_kind:     global_buffer
      - .offset:         32
        .size:           8
        .value_kind:     by_value
      - .actual_access:  read_only
        .address_space:  global
        .offset:         40
        .size:           8
        .value_kind:     global_buffer
      - .actual_access:  read_only
        .address_space:  global
        .offset:         48
        .size:           8
        .value_kind:     global_buffer
      - .offset:         56
        .size:           4
        .value_kind:     by_value
      - .actual_access:  read_only
        .address_space:  global
        .offset:         64
        .size:           8
        .value_kind:     global_buffer
      - .actual_access:  read_only
        .address_space:  global
        .offset:         72
        .size:           8
        .value_kind:     global_buffer
      - .address_space:  global
        .offset:         80
        .size:           8
        .value_kind:     global_buffer
    .group_segment_fixed_size: 0
    .kernarg_segment_align: 8
    .kernarg_segment_size: 88
    .language:       OpenCL C
    .language_version:
      - 2
      - 0
    .max_flat_workgroup_size: 60
    .name:           fft_rtc_fwd_len2160_factors_10_6_6_6_wgs_60_tpt_60_halfLds_dp_ip_CI_unitstride_sbrr_dirReg
    .private_segment_fixed_size: 0
    .sgpr_count:     26
    .sgpr_spill_count: 0
    .symbol:         fft_rtc_fwd_len2160_factors_10_6_6_6_wgs_60_tpt_60_halfLds_dp_ip_CI_unitstride_sbrr_dirReg.kd
    .uniform_work_group_size: 1
    .uses_dynamic_stack: false
    .vgpr_count:     254
    .vgpr_spill_count: 0
    .wavefront_size: 64
amdhsa.target:   amdgcn-amd-amdhsa--gfx906
amdhsa.version:
  - 1
  - 2
...

	.end_amdgpu_metadata
